;; amdgpu-corpus repo=ROCm/rocFFT kind=compiled arch=gfx950 opt=O3
	.text
	.amdgcn_target "amdgcn-amd-amdhsa--gfx950"
	.amdhsa_code_object_version 6
	.protected	bluestein_single_back_len1445_dim1_sp_op_CI_CI ; -- Begin function bluestein_single_back_len1445_dim1_sp_op_CI_CI
	.globl	bluestein_single_back_len1445_dim1_sp_op_CI_CI
	.p2align	8
	.type	bluestein_single_back_len1445_dim1_sp_op_CI_CI,@function
bluestein_single_back_len1445_dim1_sp_op_CI_CI: ; @bluestein_single_back_len1445_dim1_sp_op_CI_CI
; %bb.0:
	s_load_dwordx4 s[12:15], s[0:1], 0x28
	v_mul_u32_u24_e32 v1, 0x304, v0
	v_add_u32_sdwa v14, s2, v1 dst_sel:DWORD dst_unused:UNUSED_PAD src0_sel:DWORD src1_sel:WORD_1
	v_mov_b32_e32 v15, 0
	s_waitcnt lgkmcnt(0)
	v_cmp_gt_u64_e32 vcc, s[12:13], v[14:15]
	s_and_saveexec_b64 s[2:3], vcc
	s_cbranch_execz .LBB0_10
; %bb.1:
	s_load_dwordx4 s[4:7], s[0:1], 0x18
	s_load_dwordx4 s[8:11], s[0:1], 0x0
	v_mov_b32_e32 v2, s14
	v_mov_b32_e32 v3, s15
	s_movk_i32 s2, 0x55
	s_waitcnt lgkmcnt(0)
	s_load_dwordx4 s[12:15], s[4:5], 0x0
	v_mul_lo_u16_sdwa v1, v1, s2 dst_sel:DWORD dst_unused:UNUSED_PAD src0_sel:WORD_1 src1_sel:DWORD
	v_sub_u16_e32 v254, v0, v1
	v_mov_b32_e32 v36, 0x2a8
	v_lshlrev_b32_e32 v136, 3, v254
	s_waitcnt lgkmcnt(0)
	v_mad_u64_u32 v[0:1], s[2:3], s14, v14, 0
	v_mov_b32_e32 v4, v1
	v_mad_u64_u32 v[4:5], s[2:3], s15, v14, v[4:5]
	v_mov_b32_e32 v1, v4
	v_mad_u64_u32 v[4:5], s[2:3], s12, v254, 0
	v_mov_b32_e32 v6, v5
	v_mad_u64_u32 v[6:7], s[2:3], s13, v254, v[6:7]
	v_mov_b32_e32 v5, v6
	v_lshl_add_u64 v[0:1], v[0:1], 3, v[2:3]
	v_lshl_add_u64 v[2:3], v[4:5], 3, v[0:1]
	v_mad_u64_u32 v[4:5], s[2:3], s12, v36, v[2:3]
	s_mul_i32 s2, s13, 0x2a8
	s_nop 0
	v_add_u32_e32 v5, s2, v5
	v_mad_u64_u32 v[6:7], s[4:5], s12, v36, v[4:5]
	v_add_u32_e32 v7, s2, v7
	v_mad_u64_u32 v[8:9], s[4:5], s12, v36, v[6:7]
	v_mov_b32_e32 v137, v15
	global_load_dwordx2 v[0:1], v[2:3], off
	v_add_u32_e32 v9, s2, v9
	global_load_dwordx2 v[70:71], v136, s[8:9]
	global_load_dwordx2 v[68:69], v136, s[8:9] offset:680
	global_load_dwordx2 v[62:63], v136, s[8:9] offset:1360
	;; [unrolled: 1-line block ×3, first 2 shown]
	global_load_dwordx2 v[10:11], v[4:5], off
	global_load_dwordx2 v[12:13], v[6:7], off
	;; [unrolled: 1-line block ×3, first 2 shown]
	s_movk_i32 s3, 0x1000
	v_lshl_add_u64 v[4:5], s[8:9], 0, v[136:137]
	v_add_co_u32_e32 v6, vcc, s3, v4
	v_mad_u64_u32 v[8:9], s[4:5], s12, v36, v[8:9]
	s_nop 0
	v_addc_co_u32_e32 v7, vcc, 0, v5, vcc
	v_add_u32_e32 v9, s2, v9
	v_accvgpr_write_b32 a18, v14
	global_load_dwordx2 v[66:67], v136, s[8:9] offset:2720
	global_load_dwordx2 v[64:65], v136, s[8:9] offset:3400
	;; [unrolled: 1-line block ×3, first 2 shown]
	global_load_dwordx2 v[50:51], v[6:7], off offset:664
	global_load_dwordx2 v[46:47], v[6:7], off offset:1344
	;; [unrolled: 1-line block ×4, first 2 shown]
	global_load_dwordx2 v[14:15], v[8:9], off
	v_mad_u64_u32 v[8:9], s[4:5], s12, v36, v[8:9]
	v_add_u32_e32 v9, s2, v9
	global_load_dwordx2 v[16:17], v[8:9], off
	v_mad_u64_u32 v[8:9], s[4:5], s12, v36, v[8:9]
	v_add_u32_e32 v9, s2, v9
	global_load_dwordx2 v[18:19], v[8:9], off
	v_mad_u64_u32 v[8:9], s[4:5], s12, v36, v[8:9]
	v_add_u32_e32 v9, s2, v9
	global_load_dwordx2 v[20:21], v[8:9], off
	v_mad_u64_u32 v[8:9], s[4:5], s12, v36, v[8:9]
	v_add_u32_e32 v9, s2, v9
	global_load_dwordx2 v[22:23], v[8:9], off
	v_mad_u64_u32 v[8:9], s[4:5], s12, v36, v[8:9]
	v_add_u32_e32 v9, s2, v9
	global_load_dwordx2 v[24:25], v[8:9], off
	v_mad_u64_u32 v[8:9], s[4:5], s12, v36, v[8:9]
	v_add_u32_e32 v9, s2, v9
	global_load_dwordx2 v[26:27], v[8:9], off
	v_mad_u64_u32 v[8:9], s[4:5], s12, v36, v[8:9]
	v_add_u32_e32 v9, s2, v9
	global_load_dwordx2 v[28:29], v[8:9], off
	v_mad_u64_u32 v[8:9], s[4:5], s12, v36, v[8:9]
	v_add_u32_e32 v9, s2, v9
	global_load_dwordx2 v[30:31], v[8:9], off
	global_load_dwordx2 v[60:61], v[6:7], off offset:3384
	global_load_dwordx2 v[52:53], v[6:7], off offset:4064
	v_mad_u64_u32 v[6:7], s[4:5], s12, v36, v[8:9]
	v_add_u32_e32 v7, s2, v7
	s_movk_i32 s3, 0x2000
	global_load_dwordx2 v[8:9], v[6:7], off
	v_add_co_u32_e32 v4, vcc, s3, v4
	v_mad_u64_u32 v[6:7], s[4:5], s12, v36, v[6:7]
	s_nop 0
	v_addc_co_u32_e32 v5, vcc, 0, v5, vcc
	v_add_u32_e32 v7, s2, v7
	global_load_dwordx2 v[54:55], v[4:5], off offset:648
	global_load_dwordx2 v[32:33], v[6:7], off
	global_load_dwordx2 v[48:49], v[4:5], off offset:1328
	v_mad_u64_u32 v[6:7], s[4:5], s12, v36, v[6:7]
	v_add_u32_e32 v7, s2, v7
	global_load_dwordx2 v[34:35], v[6:7], off
	global_load_dwordx2 v[44:45], v[4:5], off offset:2008
	v_mad_u64_u32 v[6:7], s[4:5], s12, v36, v[6:7]
	v_add_u32_e32 v7, s2, v7
	global_load_dwordx2 v[36:37], v[6:7], off
	global_load_dwordx2 v[40:41], v[4:5], off offset:2688
	v_add_u32_e32 v93, 0x800, v136
	v_add_u32_e32 v190, 0x1000, v136
	;; [unrolled: 1-line block ×4, first 2 shown]
	s_load_dwordx4 s[4:7], s[6:7], 0x0
	s_mov_b32 s18, 0xbeb8f4ab
	s_waitcnt vmcnt(32)
	v_accvgpr_write_b32 a36, v70
	s_waitcnt vmcnt(31)
	v_accvgpr_write_b32 a34, v68
	;; [unrolled: 2-line block ×3, first 2 shown]
	v_accvgpr_write_b32 a35, v69
	v_mul_f32_e32 v4, v1, v71
	v_mul_f32_e32 v5, v0, v71
	v_fmac_f32_e32 v4, v0, v70
	v_fma_f32 v5, v1, v70, -v5
	s_waitcnt vmcnt(28)
	v_mul_f32_e32 v0, v11, v69
	v_mul_f32_e32 v1, v10, v69
	v_fmac_f32_e32 v0, v10, v68
	v_fma_f32 v1, v11, v68, -v1
	ds_write2_b64 v136, v[4:5], v[0:1] offset1:85
	s_waitcnt vmcnt(27)
	v_mul_f32_e32 v0, v13, v63
	v_mul_f32_e32 v1, v12, v63
	s_waitcnt vmcnt(26)
	v_mul_f32_e32 v4, v3, v59
	v_mul_f32_e32 v5, v2, v59
	v_fmac_f32_e32 v0, v12, v62
	v_fma_f32 v1, v13, v62, -v1
	v_fmac_f32_e32 v4, v2, v58
	v_fma_f32 v5, v3, v58, -v5
	ds_write2_b64 v136, v[0:1], v[4:5] offset0:170 offset1:255
	s_waitcnt vmcnt(18)
	v_mul_f32_e32 v0, v14, v67
	s_waitcnt vmcnt(17)
	v_mul_f32_e32 v2, v16, v65
	v_fma_f32 v1, v15, v66, -v0
	v_mul_f32_e32 v0, v15, v67
	v_fma_f32 v3, v17, v64, -v2
	v_mul_f32_e32 v2, v17, v65
	v_fmac_f32_e32 v0, v14, v66
	v_fmac_f32_e32 v2, v16, v64
	ds_write2_b64 v93, v[0:1], v[2:3] offset0:84 offset1:169
	s_waitcnt vmcnt(16)
	v_mul_f32_e32 v0, v19, v57
	v_mul_f32_e32 v1, v18, v57
	s_waitcnt vmcnt(15)
	v_mul_f32_e32 v2, v21, v51
	v_mul_f32_e32 v3, v20, v51
	v_fmac_f32_e32 v0, v18, v56
	v_fma_f32 v1, v19, v56, -v1
	v_fmac_f32_e32 v2, v20, v50
	v_fma_f32 v3, v21, v50, -v3
	v_add_u32_e32 v4, 0xc00, v136
	ds_write2_b64 v4, v[0:1], v[2:3] offset0:126 offset1:211
	s_waitcnt vmcnt(14)
	v_mul_f32_e32 v0, v23, v47
	v_mul_f32_e32 v1, v22, v47
	s_waitcnt vmcnt(13)
	v_mul_f32_e32 v2, v25, v43
	v_mul_f32_e32 v3, v24, v43
	v_fmac_f32_e32 v0, v22, v46
	v_fma_f32 v1, v23, v46, -v1
	v_fmac_f32_e32 v2, v24, v42
	v_fma_f32 v3, v25, v42, -v3
	ds_write2_b64 v190, v[0:1], v[2:3] offset0:168 offset1:253
	s_waitcnt vmcnt(12)
	v_mul_f32_e32 v0, v27, v39
	v_mul_f32_e32 v1, v26, v39
	s_waitcnt vmcnt(9)
	v_mul_f32_e32 v2, v29, v61
	v_mul_f32_e32 v3, v28, v61
	v_fmac_f32_e32 v0, v26, v38
	v_fma_f32 v1, v27, v38, -v1
	v_fmac_f32_e32 v2, v28, v60
	v_fma_f32 v3, v29, v60, -v3
	v_add_u32_e32 v10, 0x1800, v136
	ds_write2_b64 v10, v[0:1], v[2:3] offset0:82 offset1:167
	s_waitcnt vmcnt(8)
	v_mul_f32_e32 v0, v31, v53
	v_mul_f32_e32 v1, v30, v53
	v_fmac_f32_e32 v0, v30, v52
	v_fma_f32 v1, v31, v52, -v1
	s_waitcnt vmcnt(6)
	v_mul_f32_e32 v2, v9, v55
	v_mul_f32_e32 v3, v8, v55
	v_fmac_f32_e32 v2, v8, v54
	v_fma_f32 v3, v9, v54, -v3
	ds_write2_b64 v191, v[0:1], v[2:3] offset0:124 offset1:209
	s_waitcnt vmcnt(4)
	v_mul_f32_e32 v0, v33, v49
	v_mul_f32_e32 v1, v32, v49
	s_waitcnt vmcnt(2)
	v_mul_f32_e32 v2, v35, v45
	v_mul_f32_e32 v3, v34, v45
	v_fmac_f32_e32 v0, v32, v48
	v_fma_f32 v1, v33, v48, -v1
	v_fmac_f32_e32 v2, v34, v44
	v_fma_f32 v3, v35, v44, -v3
	ds_write2_b64 v92, v[0:1], v[2:3] offset0:166 offset1:251
	s_waitcnt vmcnt(0)
	v_mul_f32_e32 v0, v37, v41
	v_mul_f32_e32 v1, v36, v41
	v_fmac_f32_e32 v0, v36, v40
	v_fma_f32 v1, v37, v40, -v1
	ds_write_b64 v136, v[0:1] offset:10880
	s_waitcnt lgkmcnt(0)
	s_barrier
	ds_read2_b64 v[4:7], v4 offset0:126 offset1:211
	ds_read2_b64 v[8:11], v10 offset0:82 offset1:167
	ds_read2_b64 v[0:3], v136 offset1:85
	ds_read2_b64 v[12:15], v136 offset0:170 offset1:255
	ds_read2_b64 v[20:23], v93 offset0:84 offset1:169
	ds_read2_b64 v[24:27], v190 offset0:168 offset1:253
	v_accvgpr_write_b32 a32, v66
	s_waitcnt lgkmcnt(3)
	v_pk_add_f32 v[16:17], v[0:1], v[2:3]
	v_accvgpr_write_b32 a12, v50
	s_waitcnt lgkmcnt(2)
	v_pk_add_f32 v[16:17], v[16:17], v[12:13]
	v_accvgpr_write_b32 a8, v46
	v_pk_add_f32 v[16:17], v[16:17], v[14:15]
	v_accvgpr_write_b32 a33, v67
	s_waitcnt lgkmcnt(1)
	v_pk_add_f32 v[16:17], v[16:17], v[20:21]
	v_accvgpr_write_b32 a13, v51
	v_pk_add_f32 v[16:17], v[16:17], v[22:23]
	v_accvgpr_write_b32 a9, v47
	v_pk_add_f32 v[16:17], v[16:17], v[4:5]
	v_pk_add_f32 v[18:19], v[8:9], v[6:7]
	;; [unrolled: 1-line block ×3, first 2 shown]
	v_pk_add_f32 v[66:67], v[6:7], v[8:9] neg_lo:[0,1] neg_hi:[0,1]
	s_waitcnt lgkmcnt(0)
	v_pk_add_f32 v[16:17], v[16:17], v[24:25]
	v_pk_add_f32 v[46:47], v[10:11], v[4:5]
	v_pk_add_f32 v[50:51], v[4:5], v[10:11] neg_lo:[0,1] neg_hi:[0,1]
	ds_read2_b64 v[4:7], v191 offset0:124 offset1:209
	v_pk_add_f32 v[16:17], v[16:17], v[26:27]
	v_accvgpr_write_b32 a29, v63
	v_pk_add_f32 v[8:9], v[16:17], v[8:9]
	v_accvgpr_write_b32 a30, v64
	v_pk_add_f32 v[16:17], v[8:9], v[10:11]
	ds_read2_b64 v[8:11], v92 offset0:166 offset1:251
	s_waitcnt lgkmcnt(1)
	v_pk_add_f32 v[62:63], v[4:5], v[22:23]
	v_pk_add_f32 v[68:69], v[22:23], v[4:5] neg_lo:[0,1] neg_hi:[0,1]
	v_pk_add_f32 v[4:5], v[16:17], v[4:5]
	v_accvgpr_write_b32 a26, v60
	v_pk_add_f32 v[4:5], v[4:5], v[6:7]
	s_waitcnt lgkmcnt(0)
	v_pk_add_f32 v[78:79], v[8:9], v[14:15]
	v_pk_add_f32 v[82:83], v[14:15], v[8:9] neg_lo:[0,1] neg_hi:[0,1]
	v_pk_add_f32 v[4:5], v[4:5], v[8:9]
	ds_read_b64 v[8:9], v136 offset:10880
	v_accvgpr_write_b32 a31, v65
	v_accvgpr_write_b32 a27, v61
	v_pk_add_f32 v[60:61], v[6:7], v[20:21]
	v_pk_add_f32 v[64:65], v[20:21], v[6:7] neg_lo:[0,1] neg_hi:[0,1]
	s_waitcnt lgkmcnt(0)
	v_pk_add_f32 v[76:77], v[2:3], v[8:9] neg_lo:[0,1] neg_hi:[0,1]
	v_pk_add_f32 v[86:87], v[12:13], v[10:11] neg_lo:[0,1] neg_hi:[0,1]
	v_pk_add_f32 v[6:7], v[4:5], v[10:11]
	s_mov_b32 s40, 0xbf2c7751
	s_mov_b32 s12, 0x3f6eb680
	v_pk_add_f32 v[74:75], v[8:9], v[2:3]
	v_pk_mul_f32 v[2:3], v[76:77], s[18:19] op_sel_hi:[1,0]
	v_accvgpr_write_b32 a37, v71
	v_pk_add_f32 v[80:81], v[10:11], v[12:13]
	v_pk_add_f32 v[70:71], v[26:27], v[24:25]
	v_pk_add_f32 v[72:73], v[24:25], v[26:27] neg_lo:[0,1] neg_hi:[0,1]
	s_mov_b32 s2, 0x3f3d2fb0
	v_pk_mul_f32 v[10:11], v[86:87], s[40:41] op_sel_hi:[1,0]
	v_pk_add_f32 v[24:25], v[6:7], v[8:9]
	v_pk_fma_f32 v[6:7], v[74:75], s[12:13], v[2:3] op_sel:[0,0,1] op_sel_hi:[1,0,0]
	v_pk_fma_f32 v[12:13], v[74:75], s[12:13], v[2:3] op_sel:[0,0,1] op_sel_hi:[1,0,0] neg_lo:[0,0,1] neg_hi:[0,0,1]
	v_pk_fma_f32 v[4:5], v[80:81], s[2:3], v[10:11] op_sel:[0,0,1] op_sel_hi:[1,0,0]
	v_pk_fma_f32 v[10:11], v[80:81], s[2:3], v[10:11] op_sel:[0,0,1] op_sel_hi:[1,0,0] neg_lo:[0,0,1] neg_hi:[0,0,1]
	v_mov_b32_e32 v9, v13
	v_mov_b32_e32 v13, v7
	s_mov_b32 s48, 0xbf65296c
	v_mov_b32_e32 v3, v11
	v_mov_b32_e32 v11, v5
	v_pk_add_f32 v[12:13], v[0:1], v[12:13]
	s_mov_b32 s14, 0x3ee437d1
	v_pk_mul_f32 v[14:15], v[82:83], s[48:49] op_sel_hi:[1,0]
	v_pk_add_f32 v[12:13], v[10:11], v[12:13]
	v_pk_fma_f32 v[10:11], v[78:79], s[14:15], v[14:15] op_sel:[0,0,1] op_sel_hi:[1,0,0]
	v_pk_fma_f32 v[14:15], v[78:79], s[14:15], v[14:15] op_sel:[0,0,1] op_sel_hi:[1,0,0] neg_lo:[0,0,1] neg_hi:[0,0,1]
	s_mov_b32 s38, 0xbf7ee86f
	v_mov_b32_e32 v5, v15
	v_mov_b32_e32 v15, v11
	s_mov_b32 s16, 0x3dbcf732
	v_pk_mul_f32 v[16:17], v[64:65], s[38:39] op_sel_hi:[1,0]
	v_pk_add_f32 v[14:15], v[14:15], v[12:13]
	v_pk_fma_f32 v[12:13], v[60:61], s[16:17], v[16:17] op_sel:[0,0,1] op_sel_hi:[1,0,0]
	v_pk_fma_f32 v[16:17], v[60:61], s[16:17], v[16:17] op_sel:[0,0,1] op_sel_hi:[1,0,0] neg_lo:[0,0,1] neg_hi:[0,0,1]
	s_mov_b32 s30, 0xbf763a35
	v_mov_b32_e32 v7, v17
	v_mov_b32_e32 v17, v13
	;; [unrolled: 8-line block ×5, first 2 shown]
	s_mov_b32 s22, 0xbf7ba420
	v_pk_mul_f32 v[28:29], v[72:73], s[26:27] op_sel_hi:[1,0]
	v_pk_add_f32 v[26:27], v[26:27], v[22:23]
	v_pk_fma_f32 v[22:23], v[70:71], s[22:23], v[28:29] op_sel:[0,0,1] op_sel_hi:[1,0,0]
	v_pk_fma_f32 v[28:29], v[70:71], s[22:23], v[28:29] op_sel:[0,0,1] op_sel_hi:[1,0,0] neg_lo:[0,0,1] neg_hi:[0,0,1]
	v_mul_lo_u16_e32 v2, 17, v254
	v_mov_b32_e32 v21, v29
	v_mov_b32_e32 v29, v23
	v_accvgpr_write_b32 a4, v42
	v_pk_add_f32 v[26:27], v[28:29], v[26:27]
	v_lshlrev_b32_e32 v15, 3, v2
	v_pk_mul_f32 v[30:31], v[76:77], s[40:41] op_sel_hi:[1,0]
	v_accvgpr_write_b32 a5, v43
	s_barrier
	ds_write2_b64 v15, v[24:25], v[26:27] offset1:1
	v_pk_mul_f32 v[26:27], v[86:87], s[38:39] op_sel_hi:[1,0]
	v_pk_fma_f32 v[42:43], v[74:75], s[2:3], v[30:31] op_sel:[0,0,1] op_sel_hi:[1,0,0] neg_lo:[0,0,1] neg_hi:[0,0,1]
	v_pk_fma_f32 v[36:37], v[74:75], s[2:3], v[30:31] op_sel:[0,0,1] op_sel_hi:[1,0,0]
	v_pk_fma_f32 v[24:25], v[80:81], s[16:17], v[26:27] op_sel:[0,0,1] op_sel_hi:[1,0,0] neg_lo:[0,0,1] neg_hi:[0,0,1]
	v_pk_fma_f32 v[26:27], v[80:81], s[16:17], v[26:27] op_sel:[0,0,1] op_sel_hi:[1,0,0]
	v_mov_b32_e32 v30, v42
	v_mov_b32_e32 v31, v37
	;; [unrolled: 1-line block ×4, first 2 shown]
	v_pk_add_f32 v[30:31], v[0:1], v[30:31]
	v_accvgpr_write_b32 a0, v38
	v_pk_add_f32 v[32:33], v[28:29], v[30:31]
	v_pk_mul_f32 v[28:29], v[82:83], s[24:25] op_sel_hi:[1,0]
	v_accvgpr_write_b32 a1, v39
	v_pk_fma_f32 v[30:31], v[78:79], s[20:21], v[28:29] op_sel:[0,0,1] op_sel_hi:[1,0,0] neg_lo:[0,0,1] neg_hi:[0,0,1]
	v_pk_fma_f32 v[28:29], v[78:79], s[20:21], v[28:29] op_sel:[0,0,1] op_sel_hi:[1,0,0]
	v_mov_b32_e32 v34, v30
	v_mov_b32_e32 v35, v29
	v_pk_add_f32 v[38:39], v[34:35], v[32:33]
	v_pk_mul_f32 v[32:33], v[64:65], s[26:27] op_sel_hi:[1,0]
	v_accvgpr_write_b32 a2, v40
	v_pk_fma_f32 v[34:35], v[60:61], s[22:23], v[32:33] op_sel:[0,0,1] op_sel_hi:[1,0,0] neg_lo:[0,0,1] neg_hi:[0,0,1]
	v_pk_fma_f32 v[32:33], v[60:61], s[22:23], v[32:33] op_sel:[0,0,1] op_sel_hi:[1,0,0]
	v_accvgpr_write_b32 a3, v41
	v_mov_b32_e32 v40, v34
	v_mov_b32_e32 v41, v33
	s_mov_b32 s54, 0x3f06c442
	v_accvgpr_write_b32 a10, v48
	v_accvgpr_write_b32 a6, v44
	v_pk_add_f32 v[40:41], v[40:41], v[38:39]
	v_pk_mul_f32 v[38:39], v[68:69], s[54:55] op_sel_hi:[1,0]
	v_accvgpr_write_b32 a14, v52
	v_accvgpr_write_b32 a11, v49
	;; [unrolled: 1-line block ×3, first 2 shown]
	v_pk_fma_f32 v[44:45], v[62:63], s[34:35], v[38:39] op_sel:[0,0,1] op_sel_hi:[1,0,0]
	v_pk_fma_f32 v[48:49], v[62:63], s[34:35], v[38:39] op_sel:[0,0,1] op_sel_hi:[1,0,0] neg_lo:[0,0,1] neg_hi:[0,0,1]
	s_mov_b32 s50, 0x3f763a35
	v_accvgpr_write_b32 a15, v53
	v_mov_b32_e32 v39, v49
	v_mov_b32_e32 v49, v45
	v_pk_mul_f32 v[52:53], v[50:51], s[50:51] op_sel_hi:[1,0]
	v_pk_add_f32 v[40:41], v[48:49], v[40:41]
	v_pk_fma_f32 v[48:49], v[46:47], s[28:29], v[52:53] op_sel:[0,0,1] op_sel_hi:[1,0,0]
	v_pk_fma_f32 v[52:53], v[46:47], s[28:29], v[52:53] op_sel:[0,0,1] op_sel_hi:[1,0,0] neg_lo:[0,0,1] neg_hi:[0,0,1]
	s_mov_b32 s42, 0x3f65296c
	v_mov_b32_e32 v23, v53
	v_mov_b32_e32 v53, v49
	v_accvgpr_write_b32 a22, v56
	v_accvgpr_write_b32 a16, v54
	v_pk_add_f32 v[52:53], v[52:53], v[40:41]
	v_pk_mul_f32 v[40:41], v[66:67], s[42:43] op_sel_hi:[1,0]
	v_accvgpr_write_b32 a23, v57
	v_accvgpr_write_b32 a17, v55
	v_pk_fma_f32 v[56:57], v[18:19], s[14:15], v[40:41] op_sel:[0,0,1] op_sel_hi:[1,0,0]
	v_pk_fma_f32 v[54:55], v[18:19], s[14:15], v[40:41] op_sel:[0,0,1] op_sel_hi:[1,0,0] neg_lo:[0,0,1] neg_hi:[0,0,1]
	s_mov_b32 s44, 0x3eb8f4ab
	v_mov_b32_e32 v41, v55
	v_mov_b32_e32 v55, v57
	v_accvgpr_write_b32 a24, v58
	v_pk_add_f32 v[52:53], v[54:55], v[52:53]
	v_pk_mul_f32 v[54:55], v[72:73], s[44:45] op_sel_hi:[1,0]
	v_accvgpr_write_b32 a25, v59
	v_pk_fma_f32 v[58:59], v[70:71], s[12:13], v[54:55] op_sel:[0,0,1] op_sel_hi:[1,0,0]
	v_pk_fma_f32 v[54:55], v[70:71], s[12:13], v[54:55] op_sel:[0,0,1] op_sel_hi:[1,0,0] neg_lo:[0,0,1] neg_hi:[0,0,1]
	v_pk_mul_f32 v[88:89], v[76:77], s[48:49] op_sel_hi:[1,0]
	v_mov_b32_e32 v45, v55
	v_mov_b32_e32 v55, v59
	v_pk_add_f32 v[96:97], v[54:55], v[52:53]
	v_pk_mul_f32 v[52:53], v[86:87], s[24:25] op_sel_hi:[1,0]
	v_pk_fma_f32 v[142:143], v[74:75], s[14:15], v[88:89] op_sel:[0,0,1] op_sel_hi:[1,0,0] neg_lo:[0,0,1] neg_hi:[0,0,1]
	v_pk_fma_f32 v[94:95], v[74:75], s[14:15], v[88:89] op_sel:[0,0,1] op_sel_hi:[1,0,0]
	v_pk_fma_f32 v[54:55], v[80:81], s[20:21], v[52:53] op_sel:[0,0,1] op_sel_hi:[1,0,0] neg_lo:[0,0,1] neg_hi:[0,0,1]
	v_pk_fma_f32 v[52:53], v[80:81], s[20:21], v[52:53] op_sel:[0,0,1] op_sel_hi:[1,0,0]
	v_mov_b32_e32 v88, v142
	v_mov_b32_e32 v89, v95
	;; [unrolled: 1-line block ×4, first 2 shown]
	v_pk_add_f32 v[88:89], v[0:1], v[88:89]
	s_mov_b32 s46, 0x3e3c28d5
	v_pk_add_f32 v[88:89], v[84:85], v[88:89]
	v_pk_mul_f32 v[84:85], v[82:83], s[46:47] op_sel_hi:[1,0]
	s_mov_b32 s46, 0x3f2c7751
	v_pk_fma_f32 v[90:91], v[78:79], s[22:23], v[84:85] op_sel:[0,0,1] op_sel_hi:[1,0,0] neg_lo:[0,0,1] neg_hi:[0,0,1]
	v_pk_fma_f32 v[84:85], v[78:79], s[22:23], v[84:85] op_sel:[0,0,1] op_sel_hi:[1,0,0]
	v_mov_b32_e32 v98, v90
	v_mov_b32_e32 v99, v85
	v_pk_add_f32 v[98:99], v[98:99], v[88:89]
	v_pk_mul_f32 v[88:89], v[64:65], s[50:51] op_sel_hi:[1,0]
	v_pk_mul_f32 v[102:103], v[76:77], s[38:39] op_sel_hi:[1,0]
	v_pk_fma_f32 v[112:113], v[60:61], s[28:29], v[88:89] op_sel:[0,0,1] op_sel_hi:[1,0,0] neg_lo:[0,0,1] neg_hi:[0,0,1]
	v_pk_fma_f32 v[88:89], v[60:61], s[28:29], v[88:89] op_sel:[0,0,1] op_sel_hi:[1,0,0]
	v_mov_b32_e32 v100, v112
	v_mov_b32_e32 v101, v89
	v_pk_add_f32 v[98:99], v[100:101], v[98:99]
	v_pk_mul_f32 v[100:101], v[68:69], s[46:47] op_sel_hi:[1,0]
	s_mov_b32 s52, 0x3f4c4adb
	v_pk_fma_f32 v[134:135], v[62:63], s[2:3], v[100:101] op_sel:[0,0,1] op_sel_hi:[1,0,0] neg_lo:[0,0,1] neg_hi:[0,0,1]
	v_pk_fma_f32 v[114:115], v[62:63], s[2:3], v[100:101] op_sel:[0,0,1] op_sel_hi:[1,0,0]
	v_mov_b32_e32 v100, v134
	v_mov_b32_e32 v101, v115
	v_pk_add_f32 v[98:99], v[100:101], v[98:99]
	v_pk_mul_f32 v[100:101], v[50:51], s[18:19] op_sel_hi:[1,0]
	v_pk_mul_f32 v[154:155], v[76:77], s[30:31] op_sel_hi:[1,0]
	v_pk_fma_f32 v[132:133], v[46:47], s[12:13], v[100:101] op_sel:[0,0,1] op_sel_hi:[1,0,0] neg_lo:[0,0,1] neg_hi:[0,0,1]
	v_pk_fma_f32 v[216:217], v[46:47], s[12:13], v[100:101] op_sel:[0,0,1] op_sel_hi:[1,0,0]
	v_mov_b32_e32 v100, v132
	v_mov_b32_e32 v101, v217
	v_pk_add_f32 v[98:99], v[100:101], v[98:99]
	v_pk_mul_f32 v[100:101], v[66:67], s[38:39] op_sel_hi:[1,0]
	v_pk_fma_f32 v[152:153], v[74:75], s[28:29], v[154:155] op_sel:[0,0,1] op_sel_hi:[1,0,0] neg_lo:[0,0,1] neg_hi:[0,0,1]
	v_pk_fma_f32 v[212:213], v[18:19], s[16:17], v[100:101] op_sel:[0,0,1] op_sel_hi:[1,0,0] neg_lo:[0,0,1] neg_hi:[0,0,1]
	v_pk_fma_f32 v[138:139], v[18:19], s[16:17], v[100:101] op_sel:[0,0,1] op_sel_hi:[1,0,0]
	v_mov_b32_e32 v100, v212
	v_mov_b32_e32 v101, v139
	v_pk_add_f32 v[98:99], v[100:101], v[98:99]
	v_pk_mul_f32 v[100:101], v[72:73], s[36:37] op_sel_hi:[1,0]
	v_pk_fma_f32 v[154:155], v[74:75], s[28:29], v[154:155] op_sel:[0,0,1] op_sel_hi:[1,0,0]
	v_pk_fma_f32 v[146:147], v[70:71], s[34:35], v[100:101] op_sel:[0,0,1] op_sel_hi:[1,0,0] neg_lo:[0,0,1] neg_hi:[0,0,1]
	v_pk_fma_f32 v[140:141], v[70:71], s[34:35], v[100:101] op_sel:[0,0,1] op_sel_hi:[1,0,0]
	v_mov_b32_e32 v100, v146
	v_mov_b32_e32 v101, v141
	v_pk_add_f32 v[98:99], v[100:101], v[98:99]
	ds_write2_b64 v15, v[96:97], v[98:99] offset0:2 offset1:3
	v_pk_mul_f32 v[96:97], v[86:87], s[26:27] op_sel_hi:[1,0]
	v_pk_fma_f32 v[100:101], v[74:75], s[16:17], v[102:103] op_sel:[0,0,1] op_sel_hi:[1,0,0] neg_lo:[0,0,1] neg_hi:[0,0,1]
	v_pk_fma_f32 v[102:103], v[74:75], s[16:17], v[102:103] op_sel:[0,0,1] op_sel_hi:[1,0,0]
	v_pk_fma_f32 v[98:99], v[80:81], s[22:23], v[96:97] op_sel:[0,0,1] op_sel_hi:[1,0,0] neg_lo:[0,0,1] neg_hi:[0,0,1]
	v_pk_fma_f32 v[96:97], v[80:81], s[22:23], v[96:97] op_sel:[0,0,1] op_sel_hi:[1,0,0]
	v_mov_b32_e32 v106, v100
	v_mov_b32_e32 v107, v103
	;; [unrolled: 1-line block ×4, first 2 shown]
	v_pk_add_f32 v[106:107], v[0:1], v[106:107]
	v_mov_b32_e32 v158, v152
	v_pk_add_f32 v[106:107], v[104:105], v[106:107]
	v_pk_mul_f32 v[104:105], v[82:83], s[50:51] op_sel_hi:[1,0]
	v_mov_b32_e32 v159, v155
	v_pk_fma_f32 v[110:111], v[78:79], s[28:29], v[104:105] op_sel:[0,0,1] op_sel_hi:[1,0,0] neg_lo:[0,0,1] neg_hi:[0,0,1]
	v_pk_fma_f32 v[104:105], v[78:79], s[28:29], v[104:105] op_sel:[0,0,1] op_sel_hi:[1,0,0]
	v_mov_b32_e32 v108, v110
	v_mov_b32_e32 v109, v105
	v_pk_add_f32 v[108:109], v[108:109], v[106:107]
	v_pk_mul_f32 v[106:107], v[64:65], s[44:45] op_sel_hi:[1,0]
	v_pk_add_f32 v[158:159], v[0:1], v[158:159]
	v_pk_fma_f32 v[118:119], v[60:61], s[12:13], v[106:107] op_sel:[0,0,1] op_sel_hi:[1,0,0] neg_lo:[0,0,1] neg_hi:[0,0,1]
	v_pk_fma_f32 v[106:107], v[60:61], s[12:13], v[106:107] op_sel:[0,0,1] op_sel_hi:[1,0,0]
	v_mov_b32_e32 v116, v118
	v_mov_b32_e32 v117, v107
	v_pk_add_f32 v[116:117], v[116:117], v[108:109]
	v_pk_mul_f32 v[108:109], v[68:69], s[48:49] op_sel_hi:[1,0]
	v_pk_mul_f32 v[186:187], v[76:77], s[24:25] op_sel_hi:[1,0]
	v_pk_fma_f32 v[120:121], v[62:63], s[14:15], v[108:109] op_sel:[0,0,1] op_sel_hi:[1,0,0] neg_lo:[0,0,1] neg_hi:[0,0,1]
	v_pk_fma_f32 v[108:109], v[62:63], s[14:15], v[108:109] op_sel:[0,0,1] op_sel_hi:[1,0,0]
	v_mov_b32_e32 v122, v120
	v_mov_b32_e32 v123, v109
	v_pk_add_f32 v[122:123], v[122:123], v[116:117]
	v_pk_mul_f32 v[116:117], v[50:51], s[36:37] op_sel_hi:[1,0]
	v_pk_mul_f32 v[224:225], v[76:77], s[36:37] op_sel_hi:[1,0]
	v_pk_fma_f32 v[124:125], v[46:47], s[34:35], v[116:117] op_sel:[0,0,1] op_sel_hi:[1,0,0] neg_lo:[0,0,1] neg_hi:[0,0,1]
	v_pk_fma_f32 v[116:117], v[46:47], s[34:35], v[116:117] op_sel:[0,0,1] op_sel_hi:[1,0,0]
	v_mov_b32_e32 v126, v124
	v_mov_b32_e32 v127, v117
	v_pk_add_f32 v[126:127], v[126:127], v[122:123]
	v_pk_mul_f32 v[122:123], v[66:67], s[52:53] op_sel_hi:[1,0]
	v_pk_fma_f32 v[226:227], v[74:75], s[34:35], v[224:225] op_sel:[0,0,1] op_sel_hi:[1,0,0] neg_lo:[0,0,1] neg_hi:[0,0,1]
	v_pk_fma_f32 v[130:131], v[18:19], s[20:21], v[122:123] op_sel:[0,0,1] op_sel_hi:[1,0,0] neg_lo:[0,0,1] neg_hi:[0,0,1]
	v_pk_fma_f32 v[122:123], v[18:19], s[20:21], v[122:123] op_sel:[0,0,1] op_sel_hi:[1,0,0]
	v_mov_b32_e32 v128, v130
	v_mov_b32_e32 v129, v123
	v_pk_add_f32 v[148:149], v[128:129], v[126:127]
	v_pk_mul_f32 v[126:127], v[72:73], s[46:47] op_sel_hi:[1,0]
	v_pk_fma_f32 v[224:225], v[74:75], s[34:35], v[224:225] op_sel:[0,0,1] op_sel_hi:[1,0,0]
	v_pk_fma_f32 v[128:129], v[70:71], s[2:3], v[126:127] op_sel:[0,0,1] op_sel_hi:[1,0,0] neg_lo:[0,0,1] neg_hi:[0,0,1]
	v_pk_fma_f32 v[126:127], v[70:71], s[2:3], v[126:127] op_sel:[0,0,1] op_sel_hi:[1,0,0]
	v_mov_b32_e32 v150, v128
	v_mov_b32_e32 v151, v127
	v_pk_add_f32 v[180:181], v[150:151], v[148:149]
	v_pk_mul_f32 v[148:149], v[86:87], s[54:55] op_sel_hi:[1,0]
	v_mov_b32_e32 v228, v226
	v_pk_fma_f32 v[150:151], v[80:81], s[34:35], v[148:149] op_sel:[0,0,1] op_sel_hi:[1,0,0] neg_lo:[0,0,1] neg_hi:[0,0,1]
	v_pk_fma_f32 v[148:149], v[80:81], s[34:35], v[148:149] op_sel:[0,0,1] op_sel_hi:[1,0,0]
	v_mov_b32_e32 v156, v150
	v_mov_b32_e32 v157, v149
	v_pk_add_f32 v[158:159], v[156:157], v[158:159]
	v_pk_mul_f32 v[156:157], v[82:83], s[46:47] op_sel_hi:[1,0]
	v_mov_b32_e32 v229, v225
	v_pk_fma_f32 v[162:163], v[78:79], s[2:3], v[156:157] op_sel:[0,0,1] op_sel_hi:[1,0,0] neg_lo:[0,0,1] neg_hi:[0,0,1]
	v_pk_fma_f32 v[156:157], v[78:79], s[2:3], v[156:157] op_sel:[0,0,1] op_sel_hi:[1,0,0]
	v_mov_b32_e32 v160, v162
	v_mov_b32_e32 v161, v157
	v_pk_add_f32 v[160:161], v[160:161], v[158:159]
	v_pk_mul_f32 v[158:159], v[64:65], s[48:49] op_sel_hi:[1,0]
	s_mov_b32 s48, 0x3f7ee86f
	v_pk_fma_f32 v[164:165], v[60:61], s[14:15], v[158:159] op_sel:[0,0,1] op_sel_hi:[1,0,0] neg_lo:[0,0,1] neg_hi:[0,0,1]
	v_pk_fma_f32 v[158:159], v[60:61], s[14:15], v[158:159] op_sel:[0,0,1] op_sel_hi:[1,0,0]
	v_mov_b32_e32 v166, v164
	v_mov_b32_e32 v167, v159
	v_pk_add_f32 v[166:167], v[166:167], v[160:161]
	v_pk_mul_f32 v[160:161], v[68:69], s[26:27] op_sel_hi:[1,0]
	v_pk_add_f32 v[228:229], v[0:1], v[228:229]
	v_pk_fma_f32 v[168:169], v[62:63], s[22:23], v[160:161] op_sel:[0,0,1] op_sel_hi:[1,0,0] neg_lo:[0,0,1] neg_hi:[0,0,1]
	v_pk_fma_f32 v[160:161], v[62:63], s[22:23], v[160:161] op_sel:[0,0,1] op_sel_hi:[1,0,0]
	v_mov_b32_e32 v170, v168
	v_mov_b32_e32 v171, v161
	v_pk_add_f32 v[170:171], v[170:171], v[166:167]
	v_pk_mul_f32 v[166:167], v[50:51], s[48:49] op_sel_hi:[1,0]
	v_mov_b32_e32 v225, v227
	v_pk_fma_f32 v[144:145], v[46:47], s[16:17], v[166:167] op_sel:[0,0,1] op_sel_hi:[1,0,0] neg_lo:[0,0,1] neg_hi:[0,0,1]
	v_pk_fma_f32 v[166:167], v[46:47], s[16:17], v[166:167] op_sel:[0,0,1] op_sel_hi:[1,0,0]
	v_mov_b32_e32 v174, v144
	v_mov_b32_e32 v175, v167
	v_pk_add_f32 v[174:175], v[174:175], v[170:171]
	v_pk_mul_f32 v[170:171], v[66:67], s[18:19] op_sel_hi:[1,0]
	v_mov_b32_e32 v155, v153
	;; [unrolled: 7-line block ×3, first 2 shown]
	v_pk_fma_f32 v[176:177], v[70:71], s[20:21], v[174:175] op_sel:[0,0,1] op_sel_hi:[1,0,0] neg_lo:[0,0,1] neg_hi:[0,0,1]
	v_pk_fma_f32 v[174:175], v[70:71], s[20:21], v[174:175] op_sel:[0,0,1] op_sel_hi:[1,0,0]
	v_mov_b32_e32 v184, v176
	v_mov_b32_e32 v185, v175
	v_pk_add_f32 v[182:183], v[184:185], v[182:183]
	ds_write2_b64 v15, v[180:181], v[182:183] offset0:4 offset1:5
	v_pk_mul_f32 v[180:181], v[86:87], s[50:51] op_sel_hi:[1,0]
	v_pk_fma_f32 v[184:185], v[74:75], s[20:21], v[186:187] op_sel:[0,0,1] op_sel_hi:[1,0,0] neg_lo:[0,0,1] neg_hi:[0,0,1]
	v_pk_fma_f32 v[186:187], v[74:75], s[20:21], v[186:187] op_sel:[0,0,1] op_sel_hi:[1,0,0]
	v_pk_fma_f32 v[182:183], v[80:81], s[28:29], v[180:181] op_sel:[0,0,1] op_sel_hi:[1,0,0] neg_lo:[0,0,1] neg_hi:[0,0,1]
	v_pk_fma_f32 v[180:181], v[80:81], s[28:29], v[180:181] op_sel:[0,0,1] op_sel_hi:[1,0,0]
	v_mov_b32_e32 v194, v184
	v_mov_b32_e32 v195, v187
	;; [unrolled: 1-line block ×4, first 2 shown]
	v_pk_add_f32 v[194:195], v[0:1], v[194:195]
	v_mov_b32_e32 v187, v185
	v_pk_add_f32 v[194:195], v[188:189], v[194:195]
	v_pk_mul_f32 v[188:189], v[82:83], s[18:19] op_sel_hi:[1,0]
	v_mov_b32_e32 v181, v183
	v_pk_fma_f32 v[172:173], v[78:79], s[12:13], v[188:189] op_sel:[0,0,1] op_sel_hi:[1,0,0] neg_lo:[0,0,1] neg_hi:[0,0,1]
	v_pk_fma_f32 v[188:189], v[78:79], s[12:13], v[188:189] op_sel:[0,0,1] op_sel_hi:[1,0,0]
	v_mov_b32_e32 v198, v172
	v_mov_b32_e32 v199, v189
	v_pk_add_f32 v[194:195], v[198:199], v[194:195]
	v_pk_mul_f32 v[198:199], v[64:65], s[36:37] op_sel_hi:[1,0]
	v_mov_b32_e32 v189, v173
	v_pk_fma_f32 v[200:201], v[60:61], s[34:35], v[198:199] op_sel:[0,0,1] op_sel_hi:[1,0,0] neg_lo:[0,0,1] neg_hi:[0,0,1]
	v_pk_fma_f32 v[198:199], v[60:61], s[34:35], v[198:199] op_sel:[0,0,1] op_sel_hi:[1,0,0]
	v_mov_b32_e32 v202, v200
	;; [unrolled: 7-line block ×8, first 2 shown]
	v_mov_b32_e32 v233, v229
	v_pk_add_f32 v[222:223], v[232:233], v[222:223]
	v_pk_mul_f32 v[232:233], v[64:65], s[52:53] op_sel_hi:[1,0]
	v_pk_mul_f32 v[64:65], v[64:65], s[46:47] op_sel_hi:[1,0]
	v_pk_fma_f32 v[234:235], v[60:61], s[20:21], v[232:233] op_sel:[0,0,1] op_sel_hi:[1,0,0] neg_lo:[0,0,1] neg_hi:[0,0,1]
	v_pk_fma_f32 v[232:233], v[60:61], s[20:21], v[232:233] op_sel:[0,0,1] op_sel_hi:[1,0,0]
	v_mov_b32_e32 v236, v234
	v_mov_b32_e32 v237, v233
	v_pk_add_f32 v[222:223], v[236:237], v[222:223]
	v_pk_mul_f32 v[236:237], v[68:69], s[18:19] op_sel_hi:[1,0]
	v_mov_b32_e32 v229, v231
	v_pk_fma_f32 v[238:239], v[62:63], s[12:13], v[236:237] op_sel:[0,0,1] op_sel_hi:[1,0,0] neg_lo:[0,0,1] neg_hi:[0,0,1]
	v_pk_fma_f32 v[236:237], v[62:63], s[12:13], v[236:237] op_sel:[0,0,1] op_sel_hi:[1,0,0]
	v_mov_b32_e32 v240, v238
	v_mov_b32_e32 v241, v237
	v_pk_add_f32 v[222:223], v[240:241], v[222:223]
	v_pk_mul_f32 v[240:241], v[50:51], s[26:27] op_sel_hi:[1,0]
	v_pk_mul_f32 v[50:51], v[50:51], s[42:43] op_sel_hi:[1,0]
	v_pk_fma_f32 v[242:243], v[46:47], s[22:23], v[240:241] op_sel:[0,0,1] op_sel_hi:[1,0,0] neg_lo:[0,0,1] neg_hi:[0,0,1]
	v_pk_fma_f32 v[240:241], v[46:47], s[22:23], v[240:241] op_sel:[0,0,1] op_sel_hi:[1,0,0]
	v_mov_b32_e32 v244, v242
	v_mov_b32_e32 v245, v241
	v_pk_add_f32 v[222:223], v[244:245], v[222:223]
	v_pk_mul_f32 v[244:245], v[66:67], s[46:47] op_sel_hi:[1,0]
	v_pk_mul_f32 v[66:67], v[66:67], s[30:31] op_sel_hi:[1,0]
	v_pk_fma_f32 v[246:247], v[18:19], s[2:3], v[244:245] op_sel:[0,0,1] op_sel_hi:[1,0,0] neg_lo:[0,0,1] neg_hi:[0,0,1]
	v_pk_fma_f32 v[244:245], v[18:19], s[2:3], v[244:245] op_sel:[0,0,1] op_sel_hi:[1,0,0]
	v_mov_b32_e32 v248, v246
	v_mov_b32_e32 v249, v245
	v_pk_add_f32 v[222:223], v[248:249], v[222:223]
	v_pk_mul_f32 v[248:249], v[72:73], s[30:31] op_sel_hi:[1,0]
	v_mov_b32_e32 v233, v235
	v_pk_fma_f32 v[250:251], v[70:71], s[28:29], v[248:249] op_sel:[0,0,1] op_sel_hi:[1,0,0] neg_lo:[0,0,1] neg_hi:[0,0,1]
	v_pk_fma_f32 v[248:249], v[70:71], s[28:29], v[248:249] op_sel:[0,0,1] op_sel_hi:[1,0,0]
	v_mov_b32_e32 v252, v250
	v_mov_b32_e32 v253, v249
	v_pk_add_f32 v[222:223], v[252:253], v[222:223]
	ds_write2_b64 v15, v[194:195], v[222:223] offset0:6 offset1:7
	v_pk_fma_f32 v[194:195], v[18:19], s[28:29], v[66:67] op_sel:[0,0,1] op_sel_hi:[1,0,0] neg_lo:[0,0,1] neg_hi:[0,0,1]
	v_pk_fma_f32 v[18:19], v[18:19], s[28:29], v[66:67] op_sel:[0,0,1] op_sel_hi:[1,0,0]
	v_pk_mul_f32 v[66:67], v[86:87], s[44:45] op_sel_hi:[1,0]
	v_mov_b32_e32 v237, v239
	v_pk_fma_f32 v[86:87], v[80:81], s[12:13], v[66:67] op_sel:[0,0,1] op_sel_hi:[1,0,0] neg_lo:[0,0,1] neg_hi:[0,0,1]
	v_pk_fma_f32 v[66:67], v[80:81], s[12:13], v[66:67] op_sel:[0,0,1] op_sel_hi:[1,0,0]
	v_pk_mul_f32 v[80:81], v[82:83], s[36:37] op_sel_hi:[1,0]
	v_mov_b32_e32 v241, v243
	v_pk_fma_f32 v[82:83], v[78:79], s[34:35], v[80:81] op_sel:[0,0,1] op_sel_hi:[1,0,0] neg_lo:[0,0,1] neg_hi:[0,0,1]
	v_pk_fma_f32 v[78:79], v[78:79], s[34:35], v[80:81] op_sel:[0,0,1] op_sel_hi:[1,0,0]
	v_pk_fma_f32 v[80:81], v[60:61], s[2:3], v[64:65] op_sel:[0,0,1] op_sel_hi:[1,0,0] neg_lo:[0,0,1] neg_hi:[0,0,1]
	v_pk_fma_f32 v[60:61], v[60:61], s[2:3], v[64:65] op_sel:[0,0,1] op_sel_hi:[1,0,0]
	v_pk_mul_f32 v[64:65], v[68:69], s[24:25] op_sel_hi:[1,0]
	v_mov_b32_e32 v245, v247
	v_pk_fma_f32 v[68:69], v[62:63], s[20:21], v[64:65] op_sel:[0,0,1] op_sel_hi:[1,0,0] neg_lo:[0,0,1] neg_hi:[0,0,1]
	v_pk_fma_f32 v[62:63], v[62:63], s[20:21], v[64:65] op_sel:[0,0,1] op_sel_hi:[1,0,0]
	v_pk_mul_f32 v[64:65], v[72:73], s[48:49] op_sel_hi:[1,0]
	v_mov_b32_e32 v249, v251
	v_pk_fma_f32 v[72:73], v[70:71], s[16:17], v[64:65] op_sel:[0,0,1] op_sel_hi:[1,0,0] neg_lo:[0,0,1] neg_hi:[0,0,1]
	v_pk_fma_f32 v[64:65], v[70:71], s[16:17], v[64:65] op_sel:[0,0,1] op_sel_hi:[1,0,0]
	v_pk_fma_f32 v[70:71], v[46:47], s[14:15], v[50:51] op_sel:[0,0,1] op_sel_hi:[1,0,0] neg_lo:[0,0,1] neg_hi:[0,0,1]
	v_pk_fma_f32 v[46:47], v[46:47], s[14:15], v[50:51] op_sel:[0,0,1] op_sel_hi:[1,0,0]
	v_pk_mul_f32 v[50:51], v[76:77], s[26:27] op_sel_hi:[1,0]
	v_mov_b32_e32 v149, v151
	v_pk_fma_f32 v[76:77], v[74:75], s[22:23], v[50:51] op_sel:[0,0,1] op_sel_hi:[1,0,0] neg_lo:[0,0,1] neg_hi:[0,0,1]
	v_pk_fma_f32 v[50:51], v[74:75], s[22:23], v[50:51] op_sel:[0,0,1] op_sel_hi:[1,0,0]
	v_mov_b32_e32 v222, v76
	v_mov_b32_e32 v223, v51
	v_mov_b32_e32 v51, v77
	v_mov_b32_e32 v74, v86
	v_mov_b32_e32 v75, v67
	v_pk_add_f32 v[222:223], v[0:1], v[222:223]
	v_mov_b32_e32 v67, v87
	v_pk_add_f32 v[50:51], v[0:1], v[50:51]
	v_pk_add_f32 v[74:75], v[74:75], v[222:223]
	v_mov_b32_e32 v222, v82
	v_mov_b32_e32 v223, v79
	v_mov_b32_e32 v79, v83
	v_pk_add_f32 v[50:51], v[66:67], v[50:51]
	v_pk_add_f32 v[74:75], v[222:223], v[74:75]
	v_mov_b32_e32 v222, v80
	v_mov_b32_e32 v223, v61
	;; [unrolled: 5-line block ×6, first 2 shown]
	v_mov_b32_e32 v65, v73
	v_pk_add_f32 v[18:19], v[18:19], v[46:47]
	v_pk_add_f32 v[74:75], v[222:223], v[74:75]
	;; [unrolled: 1-line block ×3, first 2 shown]
	ds_write2_b64 v15, v[74:75], v[18:19] offset0:8 offset1:9
	v_pk_add_f32 v[18:19], v[0:1], v[224:225]
	v_pk_add_f32 v[46:47], v[0:1], v[186:187]
	;; [unrolled: 1-line block ×16, first 2 shown]
	ds_write2_b64 v15, v[18:19], v[46:47] offset0:10 offset1:11
	v_pk_add_f32 v[18:19], v[0:1], v[154:155]
	v_mov_b32_e32 v97, v99
	v_pk_add_f32 v[46:47], v[0:1], v[102:103]
	v_mov_b32_e32 v157, v163
	;; [unrolled: 2-line block ×14, first 2 shown]
	v_pk_add_f32 v[18:19], v[174:175], v[18:19]
	v_pk_add_f32 v[46:47], v[126:127], v[46:47]
	v_mov_b32_e32 v37, v43
	v_mov_b32_e32 v95, v143
	v_pk_add_f32 v[8:9], v[0:1], v[8:9]
	v_mov_b32_e32 v2, v4
	ds_write2_b64 v15, v[18:19], v[46:47] offset0:12 offset1:13
	v_pk_add_f32 v[18:19], v[0:1], v[36:37]
	v_pk_add_f32 v[0:1], v[0:1], v[94:95]
	v_mov_b32_e32 v4, v10
	v_pk_add_f32 v[2:3], v[2:3], v[8:9]
	v_mov_b32_e32 v27, v25
	v_mov_b32_e32 v53, v55
	v_pk_add_f32 v[2:3], v[4:5], v[2:3]
	v_mov_b32_e32 v29, v31
	v_pk_add_f32 v[4:5], v[26:27], v[18:19]
	;; [unrolled: 2-line block ×5, first 2 shown]
	v_mov_b32_e32 v6, v12
	v_mov_b32_e32 v38, v44
	v_pk_add_f32 v[4:5], v[32:33], v[4:5]
	v_mov_b32_e32 v115, v135
	v_pk_add_f32 v[0:1], v[88:89], v[0:1]
	v_mov_b32_e32 v10, v16
	v_mov_b32_e32 v16, v20
	v_mov_b32_e32 v20, v22
	v_mov_b32_e32 v22, v48
	v_pk_add_f32 v[2:3], v[6:7], v[2:3]
	v_pk_add_f32 v[4:5], v[38:39], v[4:5]
	v_mov_b32_e32 v217, v133
	v_pk_add_f32 v[0:1], v[114:115], v[0:1]
	v_mov_b32_e32 v40, v56
	;; [unrolled: 2-line block ×5, first 2 shown]
	v_pk_add_f32 v[2:3], v[12:13], v[2:3]
	v_pk_add_f32 v[4:5], v[40:41], v[4:5]
	v_mov_b32_e32 v141, v147
	v_pk_add_f32 v[0:1], v[138:139], v[0:1]
	v_pk_add_f32 v[2:3], v[16:17], v[2:3]
	;; [unrolled: 1-line block ×5, first 2 shown]
	ds_write2_b64 v15, v[0:1], v[60:61] offset0:14 offset1:15
	v_add_u32_e32 v0, 0x400, v136
	ds_write_b64 v15, v[2:3] offset:128
	s_waitcnt lgkmcnt(0)
	s_barrier
	ds_read2_b64 v[32:35], v0 offset0:42 offset1:161
	v_add_u32_e32 v0, 0x1400, v136
	ds_read_b64 v[62:63], v136 offset:10608
	ds_read2_b64 v[56:59], v190 offset0:66 offset1:151
	ds_read2_b64 v[40:43], v0 offset0:108 offset1:227
	;; [unrolled: 1-line block ×5, first 2 shown]
	ds_read2_b64 v[48:51], v136 offset1:85
	s_load_dwordx2 s[2:3], s[0:1], 0x38
	v_accvgpr_write_b32 a19, v15
	v_cmp_gt_u16_e32 vcc, 34, v254
                                        ; implicit-def: $vgpr4
                                        ; implicit-def: $vgpr0
                                        ; implicit-def: $vgpr6
                                        ; implicit-def: $vgpr10
                                        ; implicit-def: $vgpr8
                                        ; implicit-def: $vgpr64
	s_and_saveexec_b64 s[0:1], vcc
	s_cbranch_execz .LBB0_3
; %bb.2:
	ds_read_b64 v[4:5], v136 offset:6664
	ds_read_b64 v[6:7], v136 offset:8976
	;; [unrolled: 1-line block ×5, first 2 shown]
	s_waitcnt lgkmcnt(0)
	v_mov_b32_e32 v0, v5
	v_mov_b32_e32 v10, v7
	v_mov_b32_e32 v64, v9
.LBB0_3:
	s_or_b64 exec, exec, s[0:1]
	s_movk_i32 s0, 0xf1
	v_mul_lo_u16_sdwa v1, v254, s0 dst_sel:DWORD dst_unused:UNUSED_PAD src0_sel:BYTE_0 src1_sel:DWORD
	v_lshrrev_b16_e32 v12, 12, v1
	v_mul_lo_u16_e32 v1, 17, v12
	v_sub_u16_e32 v1, v254, v1
	v_and_b32_e32 v13, 0xff, v1
	v_lshlrev_b32_e32 v1, 5, v13
	global_load_dwordx4 v[80:83], v1, s[10:11] offset:16
	global_load_dwordx4 v[96:99], v1, s[10:11]
	v_add_u16_e32 v1, 0x55, v254
	v_mul_lo_u16_sdwa v5, v1, s0 dst_sel:DWORD dst_unused:UNUSED_PAD src0_sel:BYTE_0 src1_sel:DWORD
	v_lshrrev_b16_e32 v14, 12, v5
	v_mul_lo_u16_e32 v5, 17, v14
	v_sub_u16_e32 v1, v1, v5
	v_and_b32_e32 v15, 0xff, v1
	v_lshlrev_b32_e32 v1, 5, v15
	global_load_dwordx4 v[88:91], v1, s[10:11] offset:16
	global_load_dwordx4 v[92:95], v1, s[10:11]
	v_add_u16_e32 v1, 0xaa, v254
	;; [unrolled: 9-line block ×3, first 2 shown]
	v_mul_u32_u24_e32 v5, 0xf0f1, v1
	v_lshrrev_b32_e32 v5, 20, v5
	v_accvgpr_write_b32 a21, v5
	v_mul_lo_u16_e32 v5, 17, v5
	v_sub_u16_e32 v1, v1, v5
	v_accvgpr_write_b32 a46, v1
	v_lshlrev_b16_e32 v1, 2, v1
	v_lshlrev_b32_e32 v1, 3, v1
	global_load_dwordx4 v[22:25], v1, s[10:11]
	global_load_dwordx4 v[18:21], v1, s[10:11] offset:16
	s_mov_b32 s14, 0x3f737871
	s_mov_b32 s0, 0x3f167918
	;; [unrolled: 1-line block ×3, first 2 shown]
	v_mul_u32_u24_e32 v12, 0x55, v12
	v_add_lshl_u32 v12, v12, v13, 3
	s_waitcnt lgkmcnt(0)
	s_barrier
	v_accvgpr_write_b32 a47, v12
	s_waitcnt vmcnt(7)
	v_mov_b32_e32 v30, v83
	s_waitcnt vmcnt(6)
	v_mov_b32_e32 v104, v99
	v_accvgpr_write_b32 a96, v81
	v_accvgpr_write_b32 a86, v83
	v_accvgpr_write_b32 a70, v80
	v_accvgpr_write_b32 a72, v82
	v_accvgpr_write_b32 a108, v97
	v_accvgpr_write_b32 a98, v99
	s_waitcnt vmcnt(5)
	v_mov_b32_e32 v100, v91
	s_waitcnt vmcnt(4)
	v_mov_b32_e32 v106, v95
	v_accvgpr_write_b32 a94, v89
	v_accvgpr_write_b32 a106, v93
	v_accvgpr_write_b32 a74, v96
	v_accvgpr_write_b32 a76, v98
	v_accvgpr_write_b32 a100, v95
	;; [unrolled: 10-line block ×3, first 2 shown]
	v_accvgpr_write_b32 a58, v90
	v_accvgpr_write_b32 a102, v87
	;; [unrolled: 1-line block ×3, first 2 shown]
	s_waitcnt vmcnt(1)
	v_pk_mul_f32 v[66:67], v[2:3], v[22:23] op_sel:[1,0]
	v_pk_mul_f32 v[68:69], v[0:1], v[24:25] op_sel_hi:[0,1]
	s_waitcnt vmcnt(0)
	v_pk_mul_f32 v[10:11], v[10:11], v[18:19] op_sel_hi:[0,1]
	v_pk_mul_f32 v[64:65], v[64:65], v[20:21] op_sel_hi:[0,1]
	v_pk_fma_f32 v[0:1], v[2:3], v[22:23], v[66:67] op_sel:[0,0,1] op_sel_hi:[1,1,0] neg_lo:[0,0,1] neg_hi:[0,0,1]
	v_pk_fma_f32 v[66:67], v[2:3], v[22:23], v[66:67] op_sel:[0,0,1] op_sel_hi:[0,1,0]
	v_pk_fma_f32 v[2:3], v[4:5], v[24:25], v[68:69] op_sel:[0,0,1] op_sel_hi:[1,1,0] neg_lo:[0,0,1] neg_hi:[0,0,1]
	v_pk_fma_f32 v[68:69], v[4:5], v[24:25], v[68:69] op_sel:[0,0,1] op_sel_hi:[0,1,0]
	;; [unrolled: 2-line block ×4, first 2 shown]
	v_mov_b32_e32 v1, v67
	v_mov_b32_e32 v3, v69
	v_mov_b32_e32 v5, v11
	v_mov_b32_e32 v7, v9
	v_pk_add_f32 v[10:11], v[0:1], v[6:7]
	v_pk_add_f32 v[64:65], v[2:3], v[0:1] neg_lo:[0,1] neg_hi:[0,1]
	v_pk_add_f32 v[66:67], v[4:5], v[6:7] neg_lo:[0,1] neg_hi:[0,1]
	v_pk_add_f32 v[70:71], v[2:3], v[4:5]
	v_pk_add_f32 v[68:69], v[0:1], v[6:7] neg_lo:[0,1] neg_hi:[0,1]
	v_pk_add_f32 v[8:9], v[2:3], v[4:5] neg_lo:[0,1] neg_hi:[0,1]
	;; [unrolled: 1-line block ×4, first 2 shown]
	v_pk_fma_f32 v[10:11], v[10:11], 0.5, v[60:61] op_sel_hi:[1,0,1] neg_lo:[1,0,0] neg_hi:[1,0,0]
	v_pk_add_f32 v[76:77], v[64:65], v[66:67]
	v_pk_fma_f32 v[64:65], v[70:71], 0.5, v[60:61] op_sel_hi:[1,0,1] neg_lo:[1,0,0] neg_hi:[1,0,0]
	v_pk_add_f32 v[66:67], v[72:73], v[74:75]
	v_pk_fma_f32 v[70:71], v[8:9], s[14:15], v[10:11] op_sel:[1,0,0] op_sel_hi:[0,0,1] neg_lo:[1,0,0] neg_hi:[1,0,0]
	v_pk_fma_f32 v[72:73], v[8:9], s[14:15], v[10:11] op_sel:[1,0,0] op_sel_hi:[0,0,1]
	v_pk_fma_f32 v[10:11], v[68:69], s[14:15], v[64:65] op_sel:[1,0,0] op_sel_hi:[0,0,1] neg_lo:[1,0,0] neg_hi:[1,0,0]
	v_pk_fma_f32 v[64:65], v[68:69], s[14:15], v[64:65] op_sel:[1,0,0] op_sel_hi:[0,0,1]
	;; [unrolled: 2-line block ×4, first 2 shown]
	v_accvgpr_write_b32 a41, v21
	v_mov_b32_e32 v78, v68
	v_mov_b32_e32 v79, v73
	v_mov_b32_e32 v71, v75
	v_mov_b32_e32 v73, v69
	v_pk_mul_f32 v[68:69], v[34:35], v[96:97] op_sel:[0,1]
	v_accvgpr_write_b32 a40, v20
	v_accvgpr_write_b32 a39, v19
	;; [unrolled: 1-line block ×3, first 2 shown]
	v_pk_fma_f32 v[18:19], v[66:67], s[12:13], v[70:71] op_sel_hi:[1,0,1]
	v_pk_fma_f32 v[70:71], v[34:35], v[96:97], v[68:69] op_sel:[0,0,1] op_sel_hi:[1,1,0] neg_lo:[0,0,1] neg_hi:[0,0,1]
	v_pk_fma_f32 v[34:35], v[34:35], v[96:97], v[68:69] op_sel:[0,0,1] op_sel_hi:[1,0,0]
	v_accvgpr_write_b32 a65, v19
	v_mov_b32_e32 v71, v35
	v_pk_mul_f32 v[34:35], v[56:57], v[104:105] op_sel_hi:[1,0]
	v_accvgpr_write_b32 a64, v18
	v_pk_fma_f32 v[68:69], v[56:57], v[98:99], v[34:35] op_sel:[0,0,1] op_sel_hi:[1,1,0] neg_lo:[0,0,1] neg_hi:[0,0,1]
	v_pk_fma_f32 v[34:35], v[56:57], v[98:99], v[34:35] op_sel:[0,0,1] op_sel_hi:[1,0,0]
	v_pk_fma_f32 v[18:19], v[76:77], s[12:13], v[78:79] op_sel_hi:[1,0,1]
	v_mov_b32_e32 v69, v35
	v_pk_mul_f32 v[34:35], v[42:43], v[80:81] op_sel:[0,1]
	v_accvgpr_write_b32 a69, v19
	v_pk_fma_f32 v[56:57], v[42:43], v[80:81], v[34:35] op_sel:[0,0,1] op_sel_hi:[1,1,0] neg_lo:[0,0,1] neg_hi:[0,0,1]
	v_pk_fma_f32 v[34:35], v[42:43], v[80:81], v[34:35] op_sel:[0,0,1] op_sel_hi:[1,0,0]
	v_accvgpr_write_b32 a68, v18
	v_mov_b32_e32 v57, v35
	v_pk_mul_f32 v[34:35], v[52:53], v[30:31] op_sel_hi:[1,0]
	v_pk_fma_f32 v[18:19], v[76:77], s[12:13], v[72:73] op_sel_hi:[1,0,1]
	v_pk_fma_f32 v[42:43], v[52:53], v[82:83], v[34:35] op_sel:[0,0,1] op_sel_hi:[1,1,0] neg_lo:[0,0,1] neg_hi:[0,0,1]
	v_pk_fma_f32 v[34:35], v[52:53], v[82:83], v[34:35] op_sel:[0,0,1] op_sel_hi:[1,0,0]
	v_pk_add_f32 v[52:53], v[68:69], v[56:57]
	v_mov_b32_e32 v43, v35
	v_pk_add_f32 v[72:73], v[70:71], v[42:43] neg_lo:[0,1] neg_hi:[0,1]
	v_pk_fma_f32 v[52:53], v[52:53], 0.5, v[48:49] op_sel_hi:[1,0,1] neg_lo:[1,0,0] neg_hi:[1,0,0]
	v_pk_mul_f32 v[74:75], v[72:73], s[14:15] op_sel_hi:[1,0]
	v_pk_add_f32 v[76:77], v[68:69], v[56:57] neg_lo:[0,1] neg_hi:[0,1]
	v_pk_add_f32 v[80:81], v[70:71], v[68:69] neg_lo:[0,1] neg_hi:[0,1]
	;; [unrolled: 1-line block ×3, first 2 shown]
	v_pk_add_f32 v[34:35], v[48:49], v[70:71]
	v_pk_mul_f32 v[78:79], v[76:77], s[0:1] op_sel_hi:[1,0]
	v_pk_add_f32 v[80:81], v[80:81], v[82:83]
	v_pk_add_f32 v[82:83], v[52:53], v[74:75] op_sel:[0,1] op_sel_hi:[1,0]
	v_pk_add_f32 v[52:53], v[52:53], v[74:75] op_sel:[0,1] op_sel_hi:[1,0] neg_lo:[0,1] neg_hi:[0,1]
	v_pk_add_f32 v[34:35], v[34:35], v[68:69]
	v_pk_add_f32 v[52:53], v[52:53], v[78:79] op_sel:[0,1] op_sel_hi:[1,0] neg_lo:[0,1] neg_hi:[0,1]
	v_pk_add_f32 v[74:75], v[82:83], v[78:79] op_sel:[0,1] op_sel_hi:[1,0]
	v_pk_add_f32 v[34:35], v[34:35], v[56:57]
	v_mov_b32_e32 v78, v74
	v_mov_b32_e32 v79, v53
	v_pk_add_f32 v[34:35], v[34:35], v[42:43]
	v_pk_fma_f32 v[78:79], v[80:81], s[12:13], v[78:79] op_sel_hi:[1,0,1]
	ds_write2_b64 v12, v[34:35], v[78:79] offset1:17
	v_pk_add_f32 v[34:35], v[70:71], v[42:43]
	v_pk_add_f32 v[42:43], v[56:57], v[42:43] neg_lo:[0,1] neg_hi:[0,1]
	v_pk_fma_f32 v[34:35], v[34:35], 0.5, v[48:49] op_sel_hi:[1,0,1] neg_lo:[1,0,0] neg_hi:[1,0,0]
	v_pk_add_f32 v[48:49], v[68:69], v[70:71] neg_lo:[0,1] neg_hi:[0,1]
	v_pk_mul_f32 v[56:57], v[72:73], s[0:1] op_sel_hi:[1,0]
	v_pk_add_f32 v[42:43], v[48:49], v[42:43]
	v_pk_mul_f32 v[48:49], v[76:77], s[14:15] op_sel_hi:[1,0]
	v_mov_b32_e32 v53, v75
	v_pk_add_f32 v[68:69], v[34:35], v[48:49] op_sel:[0,1] op_sel_hi:[1,0] neg_lo:[0,1] neg_hi:[0,1]
	v_pk_add_f32 v[34:35], v[34:35], v[48:49] op_sel:[0,1] op_sel_hi:[1,0]
	v_pk_add_f32 v[48:49], v[68:69], v[56:57] op_sel:[0,1] op_sel_hi:[1,0]
	v_pk_add_f32 v[34:35], v[34:35], v[56:57] op_sel:[0,1] op_sel_hi:[1,0] neg_lo:[0,1] neg_hi:[0,1]
	v_mov_b32_e32 v56, v48
	v_mov_b32_e32 v57, v35
	;; [unrolled: 1-line block ×3, first 2 shown]
	v_pk_fma_f32 v[56:57], v[42:43], s[12:13], v[56:57] op_sel_hi:[1,0,1]
	v_pk_fma_f32 v[34:35], v[42:43], s[12:13], v[34:35] op_sel_hi:[1,0,1]
	ds_write2_b64 v12, v[56:57], v[34:35] offset0:34 offset1:51
	v_pk_fma_f32 v[34:35], v[80:81], s[12:13], v[52:53] op_sel_hi:[1,0,1]
	ds_write_b64 v12, v[34:35] offset:544
	v_pk_mul_f32 v[34:35], v[44:45], v[92:93] op_sel:[0,1]
	v_mul_u32_u24_e32 v12, 0x55, v14
	v_pk_fma_f32 v[42:43], v[44:45], v[92:93], v[34:35] op_sel:[0,0,1] op_sel_hi:[1,1,0] neg_lo:[0,0,1] neg_hi:[0,0,1]
	v_pk_fma_f32 v[34:35], v[44:45], v[92:93], v[34:35] op_sel:[0,0,1] op_sel_hi:[1,0,0]
	v_add_lshl_u32 v12, v12, v15, 3
	v_mov_b32_e32 v43, v35
	v_pk_mul_f32 v[34:35], v[58:59], v[106:107] op_sel_hi:[1,0]
	v_accvgpr_write_b32 a49, v12
	v_pk_fma_f32 v[44:45], v[58:59], v[94:95], v[34:35] op_sel:[0,0,1] op_sel_hi:[1,1,0] neg_lo:[0,0,1] neg_hi:[0,0,1]
	v_pk_fma_f32 v[34:35], v[58:59], v[94:95], v[34:35] op_sel:[0,0,1] op_sel_hi:[1,0,0]
	v_accvgpr_write_b32 a45, v25
	v_mov_b32_e32 v45, v35
	v_pk_mul_f32 v[34:35], v[36:37], v[88:89] op_sel:[0,1]
	v_pk_add_f32 v[70:71], v[42:43], v[44:45] neg_lo:[0,1] neg_hi:[0,1]
	v_pk_fma_f32 v[48:49], v[36:37], v[88:89], v[34:35] op_sel:[0,0,1] op_sel_hi:[1,1,0] neg_lo:[0,0,1] neg_hi:[0,0,1]
	v_pk_fma_f32 v[34:35], v[36:37], v[88:89], v[34:35] op_sel:[0,0,1] op_sel_hi:[1,0,0]
	v_accvgpr_write_b32 a67, v19
	v_mov_b32_e32 v49, v35
	v_pk_mul_f32 v[34:35], v[54:55], v[100:101] op_sel_hi:[1,0]
	v_pk_add_f32 v[52:53], v[44:45], v[48:49]
	v_pk_fma_f32 v[36:37], v[54:55], v[90:91], v[34:35] op_sel:[0,0,1] op_sel_hi:[1,1,0] neg_lo:[0,0,1] neg_hi:[0,0,1]
	v_pk_fma_f32 v[34:35], v[54:55], v[90:91], v[34:35] op_sel:[0,0,1] op_sel_hi:[1,0,0]
	v_pk_fma_f32 v[52:53], v[52:53], 0.5, v[50:51] op_sel_hi:[1,0,1] neg_lo:[1,0,0] neg_hi:[1,0,0]
	v_mov_b32_e32 v37, v35
	v_pk_add_f32 v[54:55], v[42:43], v[36:37] neg_lo:[0,1] neg_hi:[0,1]
	v_pk_add_f32 v[58:59], v[44:45], v[48:49] neg_lo:[0,1] neg_hi:[0,1]
	v_pk_mul_f32 v[56:57], v[54:55], s[14:15] op_sel_hi:[1,0]
	v_pk_add_f32 v[72:73], v[36:37], v[48:49] neg_lo:[0,1] neg_hi:[0,1]
	v_pk_add_f32 v[34:35], v[50:51], v[42:43]
	v_pk_mul_f32 v[68:69], v[58:59], s[0:1] op_sel_hi:[1,0]
	v_pk_add_f32 v[70:71], v[70:71], v[72:73]
	v_pk_add_f32 v[72:73], v[52:53], v[56:57] op_sel:[0,1] op_sel_hi:[1,0]
	v_pk_add_f32 v[52:53], v[52:53], v[56:57] op_sel:[0,1] op_sel_hi:[1,0] neg_lo:[0,1] neg_hi:[0,1]
	v_pk_add_f32 v[34:35], v[34:35], v[44:45]
	v_pk_add_f32 v[52:53], v[52:53], v[68:69] op_sel:[0,1] op_sel_hi:[1,0] neg_lo:[0,1] neg_hi:[0,1]
	v_pk_add_f32 v[56:57], v[72:73], v[68:69] op_sel:[0,1] op_sel_hi:[1,0]
	v_pk_add_f32 v[34:35], v[34:35], v[48:49]
	v_mov_b32_e32 v68, v56
	v_mov_b32_e32 v69, v53
	v_pk_add_f32 v[34:35], v[34:35], v[36:37]
	v_pk_fma_f32 v[68:69], v[70:71], s[12:13], v[68:69] op_sel_hi:[1,0,1]
	ds_write2_b64 v12, v[34:35], v[68:69] offset1:17
	v_pk_add_f32 v[34:35], v[42:43], v[36:37]
	v_pk_add_f32 v[42:43], v[44:45], v[42:43] neg_lo:[0,1] neg_hi:[0,1]
	v_pk_add_f32 v[36:37], v[48:49], v[36:37] neg_lo:[0,1] neg_hi:[0,1]
	v_pk_fma_f32 v[34:35], v[34:35], 0.5, v[50:51] op_sel_hi:[1,0,1] neg_lo:[1,0,0] neg_hi:[1,0,0]
	v_pk_add_f32 v[36:37], v[42:43], v[36:37]
	v_pk_mul_f32 v[42:43], v[58:59], s[14:15] op_sel_hi:[1,0]
	v_pk_mul_f32 v[44:45], v[54:55], s[0:1] op_sel_hi:[1,0]
	v_pk_add_f32 v[48:49], v[34:35], v[42:43] op_sel:[0,1] op_sel_hi:[1,0] neg_lo:[0,1] neg_hi:[0,1]
	v_pk_add_f32 v[34:35], v[34:35], v[42:43] op_sel:[0,1] op_sel_hi:[1,0]
	v_pk_add_f32 v[42:43], v[48:49], v[44:45] op_sel:[0,1] op_sel_hi:[1,0]
	v_pk_add_f32 v[34:35], v[34:35], v[44:45] op_sel:[0,1] op_sel_hi:[1,0] neg_lo:[0,1] neg_hi:[0,1]
	v_mov_b32_e32 v44, v42
	v_mov_b32_e32 v45, v35
	;; [unrolled: 1-line block ×3, first 2 shown]
	v_pk_fma_f32 v[44:45], v[36:37], s[12:13], v[44:45] op_sel_hi:[1,0,1]
	v_pk_fma_f32 v[34:35], v[36:37], s[12:13], v[34:35] op_sel_hi:[1,0,1]
	v_mov_b32_e32 v53, v57
	ds_write2_b64 v12, v[44:45], v[34:35] offset0:34 offset1:51
	v_pk_fma_f32 v[34:35], v[70:71], s[12:13], v[52:53] op_sel_hi:[1,0,1]
	ds_write_b64 v12, v[34:35] offset:544
	v_pk_mul_f32 v[34:35], v[46:47], v[84:85] op_sel:[0,1]
	v_mul_u32_u24_e32 v12, 0x55, v16
	v_pk_fma_f32 v[36:37], v[46:47], v[84:85], v[34:35] op_sel:[0,0,1] op_sel_hi:[1,1,0] neg_lo:[0,0,1] neg_hi:[0,0,1]
	v_pk_fma_f32 v[34:35], v[46:47], v[84:85], v[34:35] op_sel:[0,0,1] op_sel_hi:[1,0,0]
	v_add_lshl_u32 v12, v12, v17, 3
	v_mov_b32_e32 v37, v35
	v_pk_mul_f32 v[34:35], v[40:41], v[108:109] op_sel_hi:[1,0]
	v_accvgpr_write_b32 a44, v24
	v_pk_fma_f32 v[42:43], v[40:41], v[86:87], v[34:35] op_sel:[0,0,1] op_sel_hi:[1,1,0] neg_lo:[0,0,1] neg_hi:[0,0,1]
	v_pk_fma_f32 v[34:35], v[40:41], v[86:87], v[34:35] op_sel:[0,0,1] op_sel_hi:[1,0,0]
	v_accvgpr_write_b32 a43, v23
	v_mov_b32_e32 v43, v35
	v_pk_mul_f32 v[34:35], v[38:39], v[26:27] op_sel:[0,1]
	v_pk_add_f32 v[54:55], v[36:37], v[42:43] neg_lo:[0,1] neg_hi:[0,1]
	v_pk_fma_f32 v[40:41], v[38:39], v[26:27], v[34:35] op_sel:[0,0,1] op_sel_hi:[1,1,0] neg_lo:[0,0,1] neg_hi:[0,0,1]
	v_pk_fma_f32 v[34:35], v[38:39], v[26:27], v[34:35] op_sel:[0,0,1] op_sel_hi:[1,0,0]
	v_accvgpr_write_b32 a42, v22
	v_mov_b32_e32 v41, v35
	v_pk_mul_f32 v[34:35], v[62:63], v[102:103] op_sel_hi:[1,0]
	v_pk_add_f32 v[44:45], v[42:43], v[40:41]
	v_pk_fma_f32 v[38:39], v[62:63], v[28:29], v[34:35] op_sel:[0,0,1] op_sel_hi:[1,1,0] neg_lo:[0,0,1] neg_hi:[0,0,1]
	v_pk_fma_f32 v[34:35], v[62:63], v[28:29], v[34:35] op_sel:[0,0,1] op_sel_hi:[1,0,0]
	v_pk_fma_f32 v[44:45], v[44:45], 0.5, v[32:33] op_sel_hi:[1,0,1] neg_lo:[1,0,0] neg_hi:[1,0,0]
	v_mov_b32_e32 v39, v35
	v_pk_add_f32 v[46:47], v[36:37], v[38:39] neg_lo:[0,1] neg_hi:[0,1]
	v_pk_add_f32 v[50:51], v[42:43], v[40:41] neg_lo:[0,1] neg_hi:[0,1]
	v_pk_mul_f32 v[48:49], v[46:47], s[14:15] op_sel_hi:[1,0]
	v_pk_add_f32 v[56:57], v[38:39], v[40:41] neg_lo:[0,1] neg_hi:[0,1]
	v_pk_add_f32 v[34:35], v[32:33], v[36:37]
	v_pk_mul_f32 v[52:53], v[50:51], s[0:1] op_sel_hi:[1,0]
	v_pk_add_f32 v[54:55], v[54:55], v[56:57]
	v_pk_add_f32 v[56:57], v[44:45], v[48:49] op_sel:[0,1] op_sel_hi:[1,0]
	v_pk_add_f32 v[44:45], v[44:45], v[48:49] op_sel:[0,1] op_sel_hi:[1,0] neg_lo:[0,1] neg_hi:[0,1]
	v_pk_add_f32 v[34:35], v[34:35], v[42:43]
	v_pk_add_f32 v[44:45], v[44:45], v[52:53] op_sel:[0,1] op_sel_hi:[1,0] neg_lo:[0,1] neg_hi:[0,1]
	v_pk_add_f32 v[48:49], v[56:57], v[52:53] op_sel:[0,1] op_sel_hi:[1,0]
	v_pk_add_f32 v[34:35], v[34:35], v[40:41]
	v_mov_b32_e32 v52, v48
	v_mov_b32_e32 v53, v45
	v_pk_add_f32 v[34:35], v[34:35], v[38:39]
	v_pk_fma_f32 v[52:53], v[54:55], s[12:13], v[52:53] op_sel_hi:[1,0,1]
	ds_write2_b64 v12, v[34:35], v[52:53] offset1:17
	v_pk_add_f32 v[34:35], v[36:37], v[38:39]
	v_mov_b32_e32 v45, v49
	v_pk_fma_f32 v[32:33], v[34:35], 0.5, v[32:33] op_sel_hi:[1,0,1] neg_lo:[1,0,0] neg_hi:[1,0,0]
	v_pk_add_f32 v[34:35], v[42:43], v[36:37] neg_lo:[0,1] neg_hi:[0,1]
	v_pk_add_f32 v[36:37], v[40:41], v[38:39] neg_lo:[0,1] neg_hi:[0,1]
	v_pk_mul_f32 v[38:39], v[46:47], s[0:1] op_sel_hi:[1,0]
	v_pk_add_f32 v[34:35], v[34:35], v[36:37]
	v_pk_mul_f32 v[36:37], v[50:51], s[14:15] op_sel_hi:[1,0]
	v_accvgpr_write_b32 a66, v18
	v_pk_add_f32 v[40:41], v[32:33], v[36:37] op_sel:[0,1] op_sel_hi:[1,0] neg_lo:[0,1] neg_hi:[0,1]
	v_pk_add_f32 v[32:33], v[32:33], v[36:37] op_sel:[0,1] op_sel_hi:[1,0]
	v_pk_add_f32 v[36:37], v[40:41], v[38:39] op_sel:[0,1] op_sel_hi:[1,0]
	v_pk_add_f32 v[32:33], v[32:33], v[38:39] op_sel:[0,1] op_sel_hi:[1,0] neg_lo:[0,1] neg_hi:[0,1]
	v_mov_b32_e32 v38, v36
	v_mov_b32_e32 v39, v33
	v_mov_b32_e32 v33, v37
	v_pk_fma_f32 v[38:39], v[34:35], s[12:13], v[38:39] op_sel_hi:[1,0,1]
	v_pk_fma_f32 v[32:33], v[34:35], s[12:13], v[32:33] op_sel_hi:[1,0,1]
	v_accvgpr_write_b32 a54, v86
	v_accvgpr_write_b32 a90, v29
	;; [unrolled: 1-line block ×4, first 2 shown]
	ds_write2_b64 v12, v[38:39], v[32:33] offset0:34 offset1:51
	v_pk_fma_f32 v[32:33], v[54:55], s[12:13], v[44:45] op_sel_hi:[1,0,1]
	v_accvgpr_write_b32 a51, v12
	ds_write_b64 v12, v[32:33] offset:544
	s_and_saveexec_b64 s[14:15], vcc
	s_cbranch_execz .LBB0_5
; %bb.4:
	v_pk_add_f32 v[0:1], v[60:61], v[0:1]
	v_pk_mul_f32 v[8:9], v[8:9], s[0:1] op_sel:[1,0] op_sel_hi:[0,0]
	v_pk_add_f32 v[0:1], v[0:1], v[2:3]
	s_movk_i32 s0, 0x55
	v_accvgpr_read_b32 v12, a21
	v_accvgpr_read_b32 v13, a46
	v_pk_add_f32 v[0:1], v[0:1], v[4:5]
	v_pk_add_f32 v[2:3], v[64:65], v[8:9]
	v_pk_add_f32 v[4:5], v[10:11], v[8:9] neg_lo:[0,1] neg_hi:[0,1]
	v_pk_mul_f32 v[32:33], v[66:67], s[12:13] op_sel_hi:[1,0]
	v_mad_legacy_u16 v12, v12, s0, v13
	v_mov_b32_e32 v3, v5
	v_lshlrev_b32_e32 v12, 3, v12
	v_pk_add_f32 v[0:1], v[0:1], v[6:7]
	v_pk_add_f32 v[2:3], v[32:33], v[2:3]
	ds_write2_b64 v12, v[0:1], v[2:3] offset1:17
	v_accvgpr_read_b32 v0, a66
	v_accvgpr_read_b32 v2, a68
	v_accvgpr_read_b32 v1, a67
	v_accvgpr_read_b32 v3, a69
	ds_write2_b64 v12, v[2:3], v[0:1] offset0:34 offset1:51
	ds_write_b64 v12, a[64:65] offset:544
.LBB0_5:
	s_or_b64 exec, exec, s[14:15]
	v_lshlrev_b32_e32 v0, 7, v254
	s_waitcnt lgkmcnt(0)
	s_barrier
	global_load_dwordx4 v[12:15], v0, s[10:11] offset:592
	global_load_dwordx4 v[16:19], v0, s[10:11] offset:544
	;; [unrolled: 1-line block ×8, first 2 shown]
	v_add_u32_e32 v8, 0x1000, v136
	v_add_u32_e32 v32, 0x800, v136
	;; [unrolled: 1-line block ×3, first 2 shown]
	ds_read2_b64 v[64:67], v136 offset1:85
	ds_read2_b64 v[0:3], v136 offset0:170 offset1:255
	v_add_u32_e32 v30, 0x1800, v136
	ds_read_b64 v[72:73], v136 offset:10880
	ds_read2_b64 v[4:7], v8 offset0:168 offset1:253
	v_accvgpr_write_b32 a57, v8
	ds_read2_b64 v[8:11], v32 offset0:84 offset1:169
	ds_read2_b64 v[36:39], v137 offset0:126 offset1:211
	;; [unrolled: 1-line block ×3, first 2 shown]
	v_add_u32_e32 v29, 0x1c00, v136
	ds_read2_b64 v[44:47], v29 offset0:124 offset1:209
	v_add_u32_e32 v28, 0x2000, v136
	ds_read2_b64 v[68:71], v28 offset0:166 offset1:251
	v_mov_b32_e32 v33, v32
	s_waitcnt lgkmcnt(8)
	v_mov_b32_e32 v74, v67
	s_waitcnt lgkmcnt(7)
	;; [unrolled: 2-line block ×3, first 2 shown]
	v_mov_b32_e32 v80, v9
	v_mov_b32_e32 v82, v11
	v_accvgpr_write_b32 a59, v30
	v_accvgpr_write_b32 a53, v28
	v_mov_b32_e32 v78, v3
	s_waitcnt lgkmcnt(3)
	v_mov_b32_e32 v84, v37
	v_mov_b32_e32 v86, v39
	s_mov_b32 s12, 0xbeb8f4ab
	s_mov_b32 s13, 0x3f6eb680
	;; [unrolled: 1-line block ×49, first 2 shown]
	s_waitcnt vmcnt(7)
	v_pk_mul_f32 v[110:111], v[38:39], v[12:13]
	s_waitcnt vmcnt(6)
	v_pk_mul_f32 v[88:89], v[66:67], v[16:17]
	v_pk_mul_f32 v[90:91], v[0:1], v[18:19]
	v_mov_b32_e32 v88, v17
	v_mov_b32_e32 v94, v19
	s_waitcnt vmcnt(5)
	v_pk_mul_f32 v[96:97], v[2:3], v[24:25]
	v_pk_mul_f32 v[100:101], v[8:9], v[26:27]
	v_mov_b32_e32 v102, v27
	s_waitcnt vmcnt(4)
	v_pk_mul_f32 v[104:105], v[10:11], v[20:21]
	v_mov_b32_e32 v106, v21
	v_mov_b32_e32 v110, v13
	v_mov_b32_e32 v112, v89
	s_waitcnt vmcnt(1)
	v_mov_b32_e32 v32, v117
	v_pk_mul_f32 v[88:89], v[66:67], v[88:89]
	v_pk_mul_f32 v[0:1], v[0:1], v[94:95]
	v_mov_b32_e32 v94, v90
	v_mov_b32_e32 v95, v96
	;; [unrolled: 1-line block ×3, first 2 shown]
	v_pk_mul_f32 v[8:9], v[8:9], v[102:103]
	v_mov_b32_e32 v90, v100
	v_mov_b32_e32 v91, v104
	;; [unrolled: 1-line block ×3, first 2 shown]
	v_pk_mul_f32 v[10:11], v[10:11], v[106:107]
	v_mov_b32_e32 v102, v111
	v_pk_mul_f32 v[106:107], v[38:39], v[110:111]
	v_pk_fma_f32 v[110:111], v[66:67], v[16:17], v[112:113] neg_lo:[0,0,1] neg_hi:[0,0,1]
	s_waitcnt lgkmcnt(2)
	v_pk_mul_f32 v[66:67], v[42:43], v[114:115] op_sel:[0,1]
	v_pk_fma_f32 v[8:9], v[80:81], v[26:27], v[8:9]
	v_pk_add_f32 v[80:81], v[90:91], v[104:105] neg_lo:[0,1] neg_hi:[0,1]
	v_pk_fma_f32 v[90:91], v[42:43], v[114:115], v[66:67] op_sel:[0,0,1] op_sel_hi:[1,0,0] neg_lo:[0,0,1] neg_hi:[0,0,1]
	v_pk_fma_f32 v[42:43], v[42:43], v[114:115], v[66:67] op_sel:[0,0,1] op_sel_hi:[1,0,0]
	s_waitcnt lgkmcnt(1)
	v_pk_mul_f32 v[66:67], v[44:45], v[32:33] op_sel_hi:[1,0]
	v_pk_mul_f32 v[108:109], v[36:37], v[22:23]
	v_mov_b32_e32 v30, v53
	v_pk_fma_f32 v[0:1], v[76:77], v[18:19], v[0:1]
	v_pk_fma_f32 v[76:77], v[44:45], v[116:117], v[66:67] op_sel:[0,0,1] op_sel_hi:[1,0,0] neg_lo:[0,0,1] neg_hi:[0,0,1]
	v_pk_fma_f32 v[44:45], v[44:45], v[116:117], v[66:67] op_sel:[0,0,1] op_sel_hi:[1,0,0]
	v_pk_mul_f32 v[66:67], v[46:47], v[50:51] op_sel:[0,1]
	v_mov_b32_e32 v34, v15
	v_mov_b32_e32 v98, v25
	;; [unrolled: 1-line block ×3, first 2 shown]
	v_pk_fma_f32 v[88:89], v[74:75], v[16:17], v[88:89]
	v_pk_fma_f32 v[74:75], v[46:47], v[50:51], v[66:67] op_sel:[0,0,1] op_sel_hi:[1,0,0] neg_lo:[0,0,1] neg_hi:[0,0,1]
	v_pk_fma_f32 v[46:47], v[46:47], v[50:51], v[66:67] op_sel:[0,0,1] op_sel_hi:[1,0,0]
	s_waitcnt lgkmcnt(0)
	v_pk_mul_f32 v[66:67], v[68:69], v[30:31] op_sel_hi:[1,0]
	v_mov_b32_e32 v28, v57
	v_pk_mul_f32 v[2:3], v[2:3], v[98:99]
	v_mov_b32_e32 v98, v109
	v_pk_mul_f32 v[100:101], v[36:37], v[108:109]
	v_pk_mul_f32 v[108:109], v[4:5], v[34:35] op_sel_hi:[1,0]
	v_pk_fma_f32 v[38:39], v[38:39], v[12:13], v[102:103] neg_lo:[0,0,1] neg_hi:[0,0,1]
	v_pk_fma_f32 v[102:103], v[68:69], v[52:53], v[66:67] op_sel:[0,0,1] op_sel_hi:[1,0,0] neg_lo:[0,0,1] neg_hi:[0,0,1]
	v_pk_fma_f32 v[104:105], v[68:69], v[52:53], v[66:67] op_sel:[0,0,1] op_sel_hi:[1,0,0]
	v_pk_mul_f32 v[66:67], v[70:71], v[54:55] op_sel:[0,1]
	v_accvgpr_write_b32 a85, v19
	v_pk_fma_f32 v[2:3], v[78:79], v[24:25], v[2:3]
	v_pk_fma_f32 v[78:79], v[84:85], v[22:23], v[100:101]
	v_pk_fma_f32 v[84:85], v[4:5], v[14:15], v[108:109] op_sel:[0,0,1] op_sel_hi:[1,1,0] neg_lo:[0,0,1] neg_hi:[0,0,1]
	v_pk_fma_f32 v[4:5], v[4:5], v[14:15], v[108:109] op_sel:[0,0,1] op_sel_hi:[1,0,0]
	v_pk_fma_f32 v[108:109], v[70:71], v[54:55], v[66:67] op_sel:[0,0,1] op_sel_hi:[1,0,0] neg_lo:[0,0,1] neg_hi:[0,0,1]
	v_pk_fma_f32 v[70:71], v[70:71], v[54:55], v[66:67] op_sel:[0,0,1] op_sel_hi:[1,0,0]
	v_pk_mul_f32 v[66:67], v[72:73], v[28:29] op_sel_hi:[1,0]
	v_accvgpr_write_b32 a84, v18
	v_accvgpr_write_b32 a83, v17
	;; [unrolled: 1-line block ×3, first 2 shown]
	v_pk_fma_f32 v[68:69], v[72:73], v[56:57], v[66:67] op_sel:[0,0,1] op_sel_hi:[1,0,0] neg_lo:[0,0,1] neg_hi:[0,0,1]
	v_pk_fma_f32 v[72:73], v[72:73], v[56:57], v[66:67] op_sel:[0,0,1] op_sel_hi:[1,0,0]
	v_mov_b32_e32 v17, v88
	v_pk_add_f32 v[66:67], v[16:17], v[72:73]
	v_accvgpr_write_b32 a142, v116
	v_mov_b32_e32 v66, v73
	v_mov_b32_e32 v17, v0
	v_pk_add_f32 v[94:95], v[94:95], v[96:97] neg_lo:[0,1] neg_hi:[0,1]
	v_accvgpr_write_b32 a141, v115
	v_accvgpr_write_b32 a140, v114
	;; [unrolled: 1-line block ×3, first 2 shown]
	v_mov_b32_e32 v114, v68
	v_pk_add_f32 v[248:249], v[110:111], v[68:69]
	v_pk_add_f32 v[120:121], v[110:111], v[68:69] neg_lo:[0,1] neg_hi:[0,1]
	v_pk_add_f32 v[252:253], v[88:89], v[66:67] neg_lo:[0,1] neg_hi:[0,1]
	v_pk_add_f32 v[68:69], v[16:17], v[70:71]
	v_mov_b32_e32 v66, v71
	v_mov_b32_e32 v17, v2
	v_accvgpr_write_b32 a129, v51
	v_accvgpr_write_b32 a128, v50
	v_mov_b32_e32 v113, v71
	v_pk_add_f32 v[50:51], v[0:1], v[66:67] neg_lo:[0,1] neg_hi:[0,1]
	v_mov_b32_e32 v66, v95
	v_pk_add_f32 v[70:71], v[16:17], v[104:105]
	v_mov_b32_e32 v17, v102
	v_pk_fma_f32 v[10:11], v[82:83], v[20:21], v[10:11]
	v_pk_fma_f32 v[82:83], v[86:87], v[12:13], v[106:107]
	v_mov_b32_e32 v106, v102
	v_pk_add_f32 v[226:227], v[66:67], v[102:103]
	v_pk_add_f32 v[102:103], v[94:95], v[16:17] neg_lo:[0,1] neg_hi:[0,1]
	v_mov_b32_e32 v17, v8
	v_mov_b32_e32 v115, v73
	v_pk_add_f32 v[72:73], v[16:17], v[46:47]
	v_mov_b32_e32 v17, v10
	v_mov_b32_e32 v85, v5
	s_waitcnt vmcnt(0)
	v_pk_mul_f32 v[4:5], v[6:7], v[58:59] op_sel:[0,1]
	v_mov_b32_e32 v100, v74
	v_mov_b32_e32 v107, v105
	v_mov_b32_e32 v68, v105
	v_pk_add_f32 v[228:229], v[80:81], v[74:75]
	v_pk_add_f32 v[104:105], v[80:81], v[74:75] neg_lo:[0,1] neg_hi:[0,1]
	v_mov_b32_e32 v46, v47
	v_pk_add_f32 v[74:75], v[16:17], v[44:45]
	v_mov_b32_e32 v17, v76
	v_mov_b32_e32 v48, v61
	v_pk_fma_f32 v[86:87], v[6:7], v[58:59], v[4:5] op_sel:[0,0,1] op_sel_hi:[1,1,0] neg_lo:[0,0,1] neg_hi:[0,0,1]
	v_pk_fma_f32 v[4:5], v[6:7], v[58:59], v[4:5] op_sel:[0,0,1] op_sel_hi:[1,0,0]
	v_pk_add_f32 v[234:235], v[8:9], v[46:47] neg_lo:[0,1] neg_hi:[0,1]
	v_mov_b32_e32 v46, v81
	v_pk_add_f32 v[122:123], v[80:81], v[16:17] neg_lo:[0,1] neg_hi:[0,1]
	v_mov_b32_e32 v17, v78
	v_pk_fma_f32 v[36:37], v[36:37], v[22:23], v[98:99] neg_lo:[0,0,1] neg_hi:[0,0,1]
	v_mov_b32_e32 v87, v5
	v_pk_mul_f32 v[4:5], v[40:41], v[48:49] op_sel_hi:[1,0]
	v_mov_b32_e32 v98, v76
	v_pk_add_f32 v[230:231], v[46:47], v[76:77]
	v_pk_add_f32 v[76:77], v[16:17], v[42:43]
	v_mov_b32_e32 v42, v43
	v_pk_fma_f32 v[6:7], v[40:41], v[60:61], v[4:5] op_sel:[0,0,1] op_sel_hi:[1,0,0] neg_lo:[0,0,1] neg_hi:[0,0,1]
	v_pk_add_f32 v[244:245], v[78:79], v[42:43] neg_lo:[0,1] neg_hi:[0,1]
	v_mov_b32_e32 v42, v65
	v_pk_fma_f32 v[4:5], v[40:41], v[60:61], v[4:5] op_sel:[0,0,1] op_sel_hi:[1,0,0]
	v_mov_b32_e32 v40, v6
	v_mov_b32_e32 v97, v43
	;; [unrolled: 1-line block ×3, first 2 shown]
	v_pk_add_f32 v[238:239], v[38:39], v[6:7]
	v_pk_add_f32 v[6:7], v[38:39], v[6:7] neg_lo:[0,1] neg_hi:[0,1]
	v_pk_add_f32 v[38:39], v[64:65], v[110:111]
	v_pk_add_f32 v[42:43], v[42:43], v[88:89]
	v_pk_add_f32 v[38:39], v[38:39], v[94:95]
	v_pk_add_f32 v[0:1], v[42:43], v[0:1]
	v_pk_add_f32 v[38:39], v[38:39], v[66:67]
	v_pk_add_f32 v[0:1], v[0:1], v[2:3]
	v_pk_add_f32 v[232:233], v[2:3], v[68:69] neg_lo:[0,1] neg_hi:[0,1]
	v_pk_add_f32 v[2:3], v[38:39], v[80:81]
	v_pk_add_f32 v[0:1], v[0:1], v[8:9]
	;; [unrolled: 1-line block ×4, first 2 shown]
	v_accvgpr_write_b32 a122, v117
	v_mov_b32_e32 v116, v36
	v_mov_b32_e32 v117, v78
	;; [unrolled: 1-line block ×4, first 2 shown]
	v_pk_add_f32 v[0:1], v[2:3], v[116:117]
	v_mov_b32_e32 v112, v108
	v_pk_add_f32 v[250:251], v[94:95], v[108:109]
	v_pk_add_f32 v[108:109], v[94:95], v[108:109] neg_lo:[0,1] neg_hi:[0,1]
	v_mov_b32_e32 v17, v82
	v_pk_add_f32 v[0:1], v[0:1], v[118:119]
	v_mov_b32_e32 v249, v120
	v_mov_b32_e32 v44, v45
	v_pk_add_f32 v[78:79], v[16:17], v[4:5]
	v_mov_b32_e32 v4, v5
	v_pk_add_f32 v[0:1], v[0:1], v[84:85]
	v_mov_b32_e32 v66, v252
	v_pk_mul_f32 v[8:9], v[248:249], s[42:43]
	v_mov_b32_e32 v251, v108
	v_mov_b32_e32 v41, v5
	v_pk_add_f32 v[242:243], v[10:11], v[44:45] neg_lo:[0,1] neg_hi:[0,1]
	v_pk_add_f32 v[246:247], v[82:83], v[4:5] neg_lo:[0,1] neg_hi:[0,1]
	v_pk_add_f32 v[240:241], v[84:85], v[86:87]
	v_pk_add_f32 v[4:5], v[84:85], v[86:87] neg_lo:[0,1] neg_hi:[0,1]
	v_pk_add_f32 v[0:1], v[0:1], v[86:87]
	v_pk_fma_f32 v[2:3], v[252:253], s[12:13], v[8:9] neg_lo:[1,0,0] neg_hi:[1,0,0]
	v_pk_fma_f32 v[86:87], v[66:67], s[12:13], v[8:9]
	v_accvgpr_write_b32 a145, v9
	v_mov_b32_e32 v68, v50
	v_pk_mul_f32 v[10:11], v[250:251], s[52:53]
	v_accvgpr_write_b32 a144, v8
	v_mov_b32_e32 v3, v87
	v_pk_fma_f32 v[8:9], v[50:51], s[20:21], v[10:11] neg_lo:[1,0,0] neg_hi:[1,0,0]
	v_pk_fma_f32 v[84:85], v[68:69], s[20:21], v[10:11]
	v_accvgpr_write_b32 a147, v11
	v_mov_b32_e32 v227, v103
	v_pk_add_f32 v[2:3], v[64:65], v[2:3]
	v_accvgpr_write_b32 a146, v10
	v_mov_b32_e32 v9, v85
	v_mov_b32_e32 v70, v232
	v_pk_mul_f32 v[10:11], v[226:227], s[58:59]
	v_pk_add_f32 v[2:3], v[8:9], v[2:3]
	v_pk_fma_f32 v[8:9], v[232:233], s[30:31], v[10:11] neg_lo:[1,0,0] neg_hi:[1,0,0]
	v_pk_fma_f32 v[88:89], v[70:71], s[30:31], v[10:11]
	v_accvgpr_write_b32 a149, v11
	v_mov_b32_e32 v229, v104
	v_accvgpr_write_b32 a148, v10
	v_mov_b32_e32 v9, v89
	v_mov_b32_e32 v72, v234
	v_pk_mul_f32 v[10:11], v[228:229], s[64:65]
	v_pk_add_f32 v[2:3], v[8:9], v[2:3]
	v_pk_fma_f32 v[8:9], v[234:235], s[18:19], v[10:11] neg_lo:[1,0,0] neg_hi:[1,0,0]
	v_pk_fma_f32 v[82:83], v[72:73], s[18:19], v[10:11]
	v_accvgpr_write_b32 a151, v11
	v_mov_b32_e32 v231, v123
	v_pk_add_f32 v[236:237], v[36:37], v[90:91]
	v_pk_add_f32 v[36:37], v[36:37], v[90:91] neg_lo:[0,1] neg_hi:[0,1]
	v_accvgpr_write_b32 a150, v10
	v_mov_b32_e32 v9, v83
	v_mov_b32_e32 v74, v242
	v_pk_mul_f32 v[10:11], v[230:231], s[48:49]
	v_pk_add_f32 v[2:3], v[8:9], v[2:3]
	v_pk_fma_f32 v[8:9], v[242:243], s[10:11], v[10:11] neg_lo:[1,0,0] neg_hi:[1,0,0]
	v_pk_fma_f32 v[176:177], v[74:75], s[10:11], v[10:11]
	v_accvgpr_write_b32 a153, v11
	v_mov_b32_e32 v237, v36
	v_accvgpr_write_b32 a152, v10
	v_mov_b32_e32 v9, v177
	v_mov_b32_e32 v76, v244
	v_pk_mul_f32 v[10:11], v[236:237], s[50:51]
	v_pk_add_f32 v[2:3], v[8:9], v[2:3]
	v_pk_fma_f32 v[8:9], v[244:245], s[14:15], v[10:11] neg_lo:[1,0,0] neg_hi:[1,0,0]
	v_pk_fma_f32 v[180:181], v[76:77], s[14:15], v[10:11]
	v_mov_b32_e32 v239, v6
	v_mov_b32_e32 v9, v181
	;; [unrolled: 1-line block ×3, first 2 shown]
	v_pk_add_f32 v[0:1], v[0:1], v[40:41]
	v_pk_add_f32 v[2:3], v[8:9], v[2:3]
	v_mov_b32_e32 v78, v246
	v_pk_mul_f32 v[8:9], v[238:239], s[54:55]
	v_mov_b32_e32 v99, v45
	v_pk_add_f32 v[0:1], v[0:1], v[96:97]
	v_pk_fma_f32 v[6:7], v[246:247], s[16:17], v[8:9] neg_lo:[1,0,0] neg_hi:[1,0,0]
	v_pk_fma_f32 v[184:185], v[78:79], s[16:17], v[8:9]
	v_mov_b32_e32 v101, v47
	v_pk_add_f32 v[0:1], v[0:1], v[98:99]
	v_mov_b32_e32 v7, v185
	v_mov_b32_e32 v189, v241
	;; [unrolled: 1-line block ×3, first 2 shown]
	v_pk_add_f32 v[0:1], v[0:1], v[100:101]
	v_pk_add_f32 v[2:3], v[6:7], v[2:3]
	v_mov_b32_e32 v188, v5
	v_pk_mul_f32 v[6:7], v[240:241], s[60:61]
	v_pk_add_f32 v[0:1], v[0:1], v[106:107]
	v_pk_fma_f32 v[4:5], v[188:189], s[22:23], v[6:7] neg_lo:[1,0,0] neg_hi:[1,0,0]
	v_pk_fma_f32 v[190:191], v[188:189], s[22:23], v[6:7]
	v_pk_add_f32 v[0:1], v[0:1], v[112:113]
	v_mov_b32_e32 v5, v191
	v_pk_add_f32 v[0:1], v[0:1], v[114:115]
	v_pk_add_f32 v[2:3], v[4:5], v[2:3]
	ds_write2_b64 v136, v[0:1], v[2:3] offset1:85
	v_pk_mul_f32 v[2:3], v[248:249], s[52:53]
	v_accvgpr_write_b32 a159, v7
	v_pk_fma_f32 v[0:1], v[252:253], s[20:21], v[2:3] neg_lo:[1,0,0] neg_hi:[1,0,0]
	v_pk_fma_f32 v[194:195], v[66:67], s[20:21], v[2:3]
	v_accvgpr_write_b32 a161, v3
	v_pk_mul_f32 v[4:5], v[250:251], s[64:65]
	v_accvgpr_write_b32 a157, v9
	v_accvgpr_write_b32 a158, v6
	;; [unrolled: 1-line block ×3, first 2 shown]
	v_mov_b32_e32 v1, v195
	v_pk_fma_f32 v[2:3], v[50:51], s[18:19], v[4:5] neg_lo:[1,0,0] neg_hi:[1,0,0]
	v_pk_fma_f32 v[80:81], v[68:69], s[18:19], v[4:5]
	v_accvgpr_write_b32 a163, v5
	v_pk_mul_f32 v[6:7], v[226:227], s[50:51]
	v_accvgpr_write_b32 a156, v8
	v_accvgpr_write_b32 a162, v4
	v_mov_b32_e32 v3, v81
	v_pk_fma_f32 v[4:5], v[232:233], s[14:15], v[6:7] neg_lo:[1,0,0] neg_hi:[1,0,0]
	v_pk_fma_f32 v[198:199], v[70:71], s[14:15], v[6:7]
	v_accvgpr_write_b32 a165, v7
	v_pk_mul_f32 v[8:9], v[228:229], s[60:61]
	v_pk_add_f32 v[0:1], v[64:65], v[0:1]
	v_pk_mul_f32 v[210:211], v[248:249], s[58:59]
	v_accvgpr_write_b32 a164, v6
	v_mov_b32_e32 v5, v199
	v_pk_fma_f32 v[6:7], v[234:235], s[22:23], v[8:9] neg_lo:[1,0,0] neg_hi:[1,0,0]
	v_pk_fma_f32 v[200:201], v[72:73], s[22:23], v[8:9]
	v_accvgpr_write_b32 a167, v9
	v_pk_mul_f32 v[214:215], v[230:231], s[66:67]
	v_pk_add_f32 v[0:1], v[2:3], v[0:1]
	v_pk_fma_f32 v[2:3], v[252:253], s[30:31], v[210:211] neg_lo:[1,0,0] neg_hi:[1,0,0]
	v_pk_fma_f32 v[42:43], v[66:67], s[30:31], v[210:211]
	v_pk_mul_f32 v[206:207], v[250:251], s[50:51]
	v_accvgpr_write_b32 a80, v14
	v_accvgpr_write_b32 a155, v11
	;; [unrolled: 1-line block ×3, first 2 shown]
	v_mov_b32_e32 v7, v201
	v_pk_fma_f32 v[8:9], v[242:243], s[36:37], v[214:215] neg_lo:[1,0,0] neg_hi:[1,0,0]
	v_pk_fma_f32 v[202:203], v[74:75], s[36:37], v[214:215]
	v_pk_mul_f32 v[218:219], v[236:237], s[62:63]
	v_pk_add_f32 v[0:1], v[4:5], v[0:1]
	v_mov_b32_e32 v3, v43
	v_pk_fma_f32 v[4:5], v[50:51], s[14:15], v[206:207] neg_lo:[1,0,0] neg_hi:[1,0,0]
	v_pk_fma_f32 v[134:135], v[68:69], s[14:15], v[206:207]
	v_pk_mul_f32 v[204:205], v[226:227], s[0:1]
	v_accvgpr_write_b32 a79, v13
	v_accvgpr_write_b32 a78, v12
	;; [unrolled: 1-line block ×3, first 2 shown]
	v_mov_b32_e32 v9, v203
	v_pk_fma_f32 v[10:11], v[244:245], s[34:35], v[218:219] neg_lo:[1,0,0] neg_hi:[1,0,0]
	v_pk_fma_f32 v[46:47], v[76:77], s[34:35], v[218:219]
	v_pk_mul_f32 v[222:223], v[238:239], s[56:57]
	v_pk_add_f32 v[0:1], v[6:7], v[0:1]
	v_mov_b32_e32 v5, v135
	v_pk_fma_f32 v[6:7], v[232:233], s[44:45], v[204:205] neg_lo:[1,0,0] neg_hi:[1,0,0]
	v_pk_fma_f32 v[12:13], v[70:71], s[44:45], v[204:205]
	v_pk_mul_f32 v[186:187], v[228:229], s[62:63]
	s_mov_b32 s0, s21
	s_mov_b32 s1, s28
	v_pk_add_f32 v[2:3], v[64:65], v[2:3]
	v_mov_b32_e32 v11, v47
	v_pk_fma_f32 v[36:37], v[246:247], s[24:25], v[222:223] neg_lo:[1,0,0] neg_hi:[1,0,0]
	v_pk_fma_f32 v[44:45], v[78:79], s[24:25], v[222:223]
	v_pk_add_f32 v[0:1], v[8:9], v[0:1]
	v_mov_b32_e32 v7, v13
	v_pk_fma_f32 v[8:9], v[234:235], s[34:35], v[186:187] neg_lo:[1,0,0] neg_hi:[1,0,0]
	v_pk_fma_f32 v[112:113], v[72:73], s[34:35], v[186:187]
	s_mov_b32 s29, s21
	v_pk_mul_f32 v[182:183], v[230:231], s[0:1]
	v_pk_add_f32 v[2:3], v[4:5], v[2:3]
	v_mov_b32_e32 v37, v45
	v_pk_add_f32 v[0:1], v[10:11], v[0:1]
	v_mov_b32_e32 v9, v113
	v_pk_fma_f32 v[10:11], v[242:243], s[28:29], v[182:183] neg_lo:[1,0,0] neg_hi:[1,0,0]
	v_pk_fma_f32 v[146:147], v[74:75], s[28:29], v[182:183]
	v_pk_mul_f32 v[178:179], v[236:237], s[42:43]
	v_pk_add_f32 v[2:3], v[6:7], v[2:3]
	s_mov_b32 s26, 0x3eb8f4ab
	v_pk_add_f32 v[0:1], v[36:37], v[0:1]
	v_mov_b32_e32 v11, v147
	v_pk_fma_f32 v[36:37], v[244:245], s[12:13], v[178:179] neg_lo:[1,0,0] neg_hi:[1,0,0]
	v_pk_fma_f32 v[94:95], v[76:77], s[12:13], v[178:179]
	v_pk_mul_f32 v[174:175], v[238:239], s[64:65]
	v_pk_add_f32 v[2:3], v[8:9], v[2:3]
	s_mov_b32 s46, s13
	s_mov_b32 s47, s26
	v_mov_b32_e32 v37, v95
	v_pk_fma_f32 v[4:5], v[246:247], s[18:19], v[174:175] neg_lo:[1,0,0] neg_hi:[1,0,0]
	v_pk_add_f32 v[2:3], v[10:11], v[2:3]
	v_pk_fma_f32 v[96:97], v[78:79], s[18:19], v[174:175]
	s_mov_b32 s27, s13
	v_pk_mul_f32 v[224:225], v[240:241], s[46:47]
	v_mov_b32_e32 v5, v97
	v_pk_add_f32 v[2:3], v[36:37], v[2:3]
	v_pk_mul_f32 v[160:161], v[240:241], s[54:55]
	v_pk_fma_f32 v[38:39], v[188:189], s[26:27], v[224:225] neg_lo:[1,0,0] neg_hi:[1,0,0]
	v_pk_fma_f32 v[220:221], v[188:189], s[26:27], v[224:225]
	v_pk_add_f32 v[2:3], v[4:5], v[2:3]
	v_pk_fma_f32 v[4:5], v[188:189], s[16:17], v[160:161] neg_lo:[1,0,0] neg_hi:[1,0,0]
	v_pk_fma_f32 v[100:101], v[188:189], s[16:17], v[160:161]
	v_mov_b32_e32 v39, v221
	v_mov_b32_e32 v5, v101
	v_pk_add_f32 v[0:1], v[38:39], v[0:1]
	v_pk_add_f32 v[2:3], v[4:5], v[2:3]
	v_pk_mul_f32 v[156:157], v[248:249], s[64:65]
	ds_write2_b64 v136, v[0:1], v[2:3] offset0:170 offset1:255
	v_pk_fma_f32 v[0:1], v[252:253], s[18:19], v[156:157] neg_lo:[1,0,0] neg_hi:[1,0,0]
	v_pk_fma_f32 v[104:105], v[66:67], s[18:19], v[156:157]
	v_pk_mul_f32 v[158:159], v[250:251], s[60:61]
	v_mov_b32_e32 v1, v105
	v_pk_fma_f32 v[2:3], v[50:51], s[22:23], v[158:159] neg_lo:[1,0,0] neg_hi:[1,0,0]
	v_pk_fma_f32 v[106:107], v[68:69], s[22:23], v[158:159]
	v_pk_add_f32 v[0:1], v[64:65], v[0:1]
	v_mov_b32_e32 v3, v107
	v_pk_mul_f32 v[130:131], v[226:227], s[62:63]
	v_pk_add_f32 v[0:1], v[2:3], v[0:1]
	v_pk_fma_f32 v[2:3], v[232:233], s[34:35], v[130:131] neg_lo:[1,0,0] neg_hi:[1,0,0]
	v_pk_fma_f32 v[116:117], v[70:71], s[34:35], v[130:131]
	v_pk_mul_f32 v[114:115], v[228:229], s[46:47]
	v_mov_b32_e32 v3, v117
	v_pk_add_f32 v[0:1], v[2:3], v[0:1]
	v_pk_fma_f32 v[2:3], v[234:235], s[26:27], v[114:115] neg_lo:[1,0,0] neg_hi:[1,0,0]
	v_pk_fma_f32 v[118:119], v[72:73], s[26:27], v[114:115]
	v_pk_mul_f32 v[126:127], v[230:231], s[58:59]
	v_mov_b32_e32 v3, v119
	;; [unrolled: 5-line block ×3, first 2 shown]
	s_mov_b32 s40, 0x3f4c4adb
	v_pk_add_f32 v[0:1], v[2:3], v[0:1]
	v_pk_fma_f32 v[2:3], v[244:245], s[16:17], v[138:139] neg_lo:[1,0,0] neg_hi:[1,0,0]
	v_pk_fma_f32 v[122:123], v[76:77], s[16:17], v[138:139]
	s_mov_b32 s70, s15
	s_mov_b32 s71, s40
	v_mov_b32_e32 v3, v123
	s_mov_b32 s41, s15
	v_pk_mul_f32 v[142:143], v[238:239], s[70:71]
	v_pk_add_f32 v[0:1], v[2:3], v[0:1]
	v_pk_fma_f32 v[2:3], v[246:247], s[40:41], v[142:143] neg_lo:[1,0,0] neg_hi:[1,0,0]
	v_pk_fma_f32 v[124:125], v[78:79], s[40:41], v[142:143]
	v_pk_mul_f32 v[110:111], v[240:241], s[0:1]
	v_mov_b32_e32 v3, v125
	v_pk_add_f32 v[0:1], v[2:3], v[0:1]
	v_pk_fma_f32 v[2:3], v[188:189], s[28:29], v[110:111] neg_lo:[1,0,0] neg_hi:[1,0,0]
	v_pk_fma_f32 v[140:141], v[188:189], s[28:29], v[110:111]
	v_pk_mul_f32 v[108:109], v[248:249], s[48:49]
	v_mov_b32_e32 v3, v141
	;; [unrolled: 5-line block ×3, first 2 shown]
	v_pk_fma_f32 v[2:3], v[50:51], s[36:37], v[102:103] neg_lo:[1,0,0] neg_hi:[1,0,0]
	v_pk_fma_f32 v[154:155], v[68:69], s[36:37], v[102:103]
	v_pk_mul_f32 v[98:99], v[226:227], s[0:1]
	v_mov_b32_e32 v3, v155
	v_pk_add_f32 v[0:1], v[64:65], v[0:1]
	v_pk_fma_f32 v[4:5], v[232:233], s[28:29], v[98:99] neg_lo:[1,0,0] neg_hi:[1,0,0]
	v_pk_fma_f32 v[166:167], v[70:71], s[28:29], v[98:99]
	v_pk_mul_f32 v[90:91], v[228:229], s[58:59]
	v_pk_add_f32 v[0:1], v[2:3], v[0:1]
	v_mov_b32_e32 v5, v167
	v_pk_fma_f32 v[6:7], v[234:235], s[30:31], v[90:91] neg_lo:[1,0,0] neg_hi:[1,0,0]
	v_pk_fma_f32 v[168:169], v[72:73], s[30:31], v[90:91]
	v_pk_add_f32 v[0:1], v[4:5], v[0:1]
	v_mov_b32_e32 v7, v169
	v_pk_mul_f32 v[10:11], v[230:231], s[60:61]
	s_mov_b32 s38, 0x3f7ee86f
	v_pk_add_f32 v[0:1], v[6:7], v[0:1]
	v_pk_fma_f32 v[6:7], v[242:243], s[22:23], v[10:11] neg_lo:[1,0,0] neg_hi:[1,0,0]
	v_pk_fma_f32 v[170:171], v[74:75], s[22:23], v[10:11]
	s_mov_b32 s68, s19
	s_mov_b32 s69, s38
	v_mov_b32_e32 v7, v171
	s_mov_b32 s39, s19
	v_pk_mul_f32 v[148:149], v[236:237], s[68:69]
	v_pk_add_f32 v[6:7], v[6:7], v[0:1]
	v_pk_fma_f32 v[36:37], v[244:245], s[38:39], v[148:149] neg_lo:[1,0,0] neg_hi:[1,0,0]
	v_pk_fma_f32 v[0:1], v[76:77], s[38:39], v[148:149]
	v_pk_mul_f32 v[150:151], v[238:239], s[42:43]
	v_mov_b32_e32 v37, v1
	v_pk_add_f32 v[36:37], v[36:37], v[6:7]
	v_pk_fma_f32 v[38:39], v[246:247], s[12:13], v[150:151] neg_lo:[1,0,0] neg_hi:[1,0,0]
	v_pk_fma_f32 v[6:7], v[78:79], s[12:13], v[150:151]
	v_pk_mul_f32 v[4:5], v[248:249], s[50:51]
	v_mov_b32_e32 v39, v7
	v_pk_add_f32 v[38:39], v[38:39], v[36:37]
	v_pk_mul_f32 v[36:37], v[240:241], s[50:51]
	v_pk_fma_f32 v[162:163], v[252:253], s[14:15], v[4:5] neg_lo:[1,0,0] neg_hi:[1,0,0]
	v_pk_fma_f32 v[40:41], v[188:189], s[14:15], v[36:37] neg_lo:[1,0,0] neg_hi:[1,0,0]
	v_pk_fma_f32 v[128:129], v[188:189], s[14:15], v[36:37]
	v_pk_mul_f32 v[2:3], v[226:227], s[42:43]
	v_mov_b32_e32 v41, v129
	v_pk_add_f32 v[38:39], v[40:41], v[38:39]
	ds_write2_b64 v33, v[8:9], v[38:39] offset0:84 offset1:169
	v_pk_fma_f32 v[38:39], v[66:67], s[14:15], v[4:5]
	v_pk_mul_f32 v[8:9], v[250:251], s[62:63]
	v_mov_b32_e32 v163, v39
	v_pk_fma_f32 v[164:165], v[50:51], s[34:35], v[8:9] neg_lo:[1,0,0] neg_hi:[1,0,0]
	v_pk_fma_f32 v[40:41], v[68:69], s[34:35], v[8:9]
	v_pk_add_f32 v[162:163], v[64:65], v[162:163]
	v_mov_b32_e32 v165, v41
	v_accvgpr_write_b32 a124, v15
	v_pk_add_f32 v[164:165], v[164:165], v[162:163]
	v_pk_fma_f32 v[162:163], v[232:233], s[12:13], v[2:3] neg_lo:[1,0,0] neg_hi:[1,0,0]
	v_pk_fma_f32 v[14:15], v[70:71], s[12:13], v[2:3]
	v_accvgpr_write_b32 a63, v33
	v_mov_b32_e32 v163, v15
	v_pk_mul_f32 v[32:33], v[228:229], s[54:55]
	v_pk_add_f32 v[162:163], v[162:163], v[164:165]
	v_pk_fma_f32 v[34:35], v[234:235], s[16:17], v[32:33] neg_lo:[1,0,0] neg_hi:[1,0,0]
	v_pk_fma_f32 v[164:165], v[72:73], s[16:17], v[32:33]
	v_accvgpr_write_b32 a113, v23
	v_mov_b32_e32 v35, v165
	v_pk_add_f32 v[34:35], v[34:35], v[162:163]
	v_pk_mul_f32 v[162:163], v[230:231], s[68:69]
	v_accvgpr_write_b32 a112, v22
	v_pk_fma_f32 v[16:17], v[242:243], s[38:39], v[162:163] neg_lo:[1,0,0] neg_hi:[1,0,0]
	v_pk_fma_f32 v[18:19], v[74:75], s[38:39], v[162:163]
	v_accvgpr_write_b32 a111, v21
	v_mov_b32_e32 v17, v19
	v_pk_add_f32 v[16:17], v[16:17], v[34:35]
	v_pk_mul_f32 v[34:35], v[236:237], s[52:53]
	v_accvgpr_write_b32 a110, v20
	;; [unrolled: 7-line block ×3, first 2 shown]
	v_accvgpr_write_b32 a115, v25
	v_accvgpr_write_b32 a114, v24
	v_pk_fma_f32 v[24:25], v[246:247], s[22:23], v[20:21] neg_lo:[1,0,0] neg_hi:[1,0,0]
	v_pk_fma_f32 v[26:27], v[78:79], s[22:23], v[20:21]
	v_accvgpr_write_b32 a55, v29
	v_mov_b32_e32 v25, v27
	v_pk_add_f32 v[16:17], v[24:25], v[16:17]
	v_pk_mul_f32 v[24:25], v[240:241], s[56:57]
	v_accvgpr_write_b32 a134, v56
	v_pk_fma_f32 v[48:49], v[188:189], s[24:25], v[24:25] neg_lo:[1,0,0] neg_hi:[1,0,0]
	v_pk_fma_f32 v[28:29], v[188:189], s[24:25], v[24:25]
	v_pk_mul_f32 v[30:31], v[248:249], s[54:55]
	v_mov_b32_e32 v49, v29
	v_accvgpr_write_b32 a138, v60
	v_accvgpr_write_b32 a120, v53
	;; [unrolled: 1-line block ×4, first 2 shown]
	v_pk_add_f32 v[16:17], v[48:49], v[16:17]
	v_pk_fma_f32 v[48:49], v[252:253], s[16:17], v[30:31] neg_lo:[1,0,0] neg_hi:[1,0,0]
	v_pk_fma_f32 v[52:53], v[66:67], s[16:17], v[30:31]
	v_pk_mul_f32 v[54:55], v[250:251], s[56:57]
	v_accvgpr_write_b32 a137, v59
	v_accvgpr_write_b32 a136, v58
	;; [unrolled: 1-line block ×3, first 2 shown]
	v_mov_b32_e32 v49, v53
	v_pk_fma_f32 v[56:57], v[50:51], s[24:25], v[54:55] neg_lo:[1,0,0] neg_hi:[1,0,0]
	v_pk_fma_f32 v[58:59], v[68:69], s[24:25], v[54:55]
	v_pk_add_f32 v[48:49], v[64:65], v[48:49]
	v_mov_b32_e32 v57, v59
	v_pk_add_f32 v[48:49], v[56:57], v[48:49]
	v_pk_mul_f32 v[56:57], v[226:227], s[64:65]
	v_accvgpr_write_b32 a126, v61
	v_pk_fma_f32 v[60:61], v[232:233], s[18:19], v[56:57] neg_lo:[1,0,0] neg_hi:[1,0,0]
	v_pk_fma_f32 v[62:63], v[70:71], s[18:19], v[56:57]
	v_accvgpr_write_b32 a20, v254
	v_mov_b32_e32 v61, v63
	v_pk_add_f32 v[48:49], v[60:61], v[48:49]
	v_pk_mul_f32 v[60:61], v[228:229], s[70:71]
	v_pk_mul_f32 v[250:251], v[250:251], s[46:47]
	v_pk_fma_f32 v[92:93], v[234:235], s[40:41], v[60:61] neg_lo:[1,0,0] neg_hi:[1,0,0]
	v_pk_fma_f32 v[144:145], v[72:73], s[40:41], v[60:61]
	v_pk_fma_f32 v[50:51], v[50:51], s[26:27], v[250:251] neg_lo:[1,0,0] neg_hi:[1,0,0]
	v_mov_b32_e32 v93, v145
	v_pk_add_f32 v[48:49], v[92:93], v[48:49]
	v_pk_mul_f32 v[92:93], v[230:231], s[42:43]
	v_pk_fma_f32 v[2:3], v[70:71], s[12:13], v[2:3] neg_lo:[0,0,1] neg_hi:[0,0,1]
	v_pk_fma_f32 v[192:193], v[242:243], s[12:13], v[92:93] neg_lo:[1,0,0] neg_hi:[1,0,0]
	v_pk_fma_f32 v[172:173], v[74:75], s[12:13], v[92:93]
	v_mov_b32_e32 v15, v3
	v_mov_b32_e32 v193, v173
	v_pk_add_f32 v[48:49], v[192:193], v[48:49]
	v_pk_mul_f32 v[192:193], v[236:237], s[60:61]
	v_pk_fma_f32 v[2:3], v[72:73], s[16:17], v[32:33] neg_lo:[0,0,1] neg_hi:[0,0,1]
	v_pk_fma_f32 v[196:197], v[244:245], s[22:23], v[192:193] neg_lo:[1,0,0] neg_hi:[1,0,0]
	v_pk_fma_f32 v[208:209], v[76:77], s[22:23], v[192:193]
	v_mov_b32_e32 v165, v3
	;; [unrolled: 7-line block ×3, first 2 shown]
	v_mov_b32_e32 v213, v217
	v_pk_add_f32 v[48:49], v[212:213], v[48:49]
	v_pk_mul_f32 v[212:213], v[240:241], s[48:49]
	v_pk_fma_f32 v[2:3], v[76:77], s[20:21], v[34:35] neg_lo:[0,0,1] neg_hi:[0,0,1]
	v_pk_fma_f32 v[254:255], v[188:189], s[10:11], v[212:213] neg_lo:[1,0,0] neg_hi:[1,0,0]
	v_pk_fma_f32 v[132:133], v[188:189], s[10:11], v[212:213]
	v_pk_fma_f32 v[4:5], v[66:67], s[14:15], v[4:5] neg_lo:[0,0,1] neg_hi:[0,0,1]
	v_mov_b32_e32 v255, v133
	v_pk_add_f32 v[48:49], v[254:255], v[48:49]
	ds_write2_b64 v137, v[16:17], v[48:49] offset0:126 offset1:211
	v_pk_mul_f32 v[16:17], v[248:249], s[60:61]
	v_mov_b32_e32 v23, v3
	v_pk_fma_f32 v[48:49], v[252:253], s[22:23], v[16:17] neg_lo:[1,0,0] neg_hi:[1,0,0]
	v_pk_fma_f32 v[248:249], v[66:67], s[22:23], v[16:17]
	v_pk_fma_f32 v[252:253], v[68:69], s[26:27], v[250:251]
	v_mov_b32_e32 v49, v249
	v_mov_b32_e32 v51, v253
	v_pk_add_f32 v[48:49], v[64:65], v[48:49]
	v_pk_fma_f32 v[16:17], v[66:67], s[22:23], v[16:17] neg_lo:[0,0,1] neg_hi:[0,0,1]
	v_pk_add_f32 v[48:49], v[50:51], v[48:49]
	v_pk_mul_f32 v[50:51], v[226:227], s[54:55]
	v_mov_b32_e32 v249, v17
	v_pk_fma_f32 v[226:227], v[232:233], s[16:17], v[50:51] neg_lo:[1,0,0] neg_hi:[1,0,0]
	v_pk_fma_f32 v[232:233], v[70:71], s[16:17], v[50:51]
	v_pk_fma_f32 v[16:17], v[68:69], s[26:27], v[250:251] neg_lo:[0,0,1] neg_hi:[0,0,1]
	v_mov_b32_e32 v227, v233
	v_pk_add_f32 v[48:49], v[226:227], v[48:49]
	v_pk_mul_f32 v[226:227], v[228:229], s[0:1]
	v_mov_b32_e32 v253, v17
	v_pk_fma_f32 v[228:229], v[234:235], s[28:29], v[226:227] neg_lo:[1,0,0] neg_hi:[1,0,0]
	v_pk_fma_f32 v[234:235], v[72:73], s[28:29], v[226:227]
	v_pk_fma_f32 v[16:17], v[70:71], s[16:17], v[50:51] neg_lo:[0,0,1] neg_hi:[0,0,1]
	v_mov_b32_e32 v229, v235
	v_pk_add_f32 v[48:49], v[228:229], v[48:49]
	v_pk_mul_f32 v[228:229], v[230:231], s[50:51]
	v_mov_b32_e32 v233, v17
	v_pk_fma_f32 v[230:231], v[242:243], s[14:15], v[228:229] neg_lo:[1,0,0] neg_hi:[1,0,0]
	v_pk_fma_f32 v[242:243], v[74:75], s[14:15], v[228:229]
	v_pk_fma_f32 v[16:17], v[72:73], s[28:29], v[226:227] neg_lo:[0,0,1] neg_hi:[0,0,1]
	v_mov_b32_e32 v231, v243
	v_pk_add_f32 v[48:49], v[230:231], v[48:49]
	v_pk_mul_f32 v[230:231], v[236:237], s[56:57]
	v_mov_b32_e32 v235, v17
	v_pk_fma_f32 v[236:237], v[244:245], s[24:25], v[230:231] neg_lo:[1,0,0] neg_hi:[1,0,0]
	v_pk_fma_f32 v[244:245], v[76:77], s[24:25], v[230:231]
	v_pk_fma_f32 v[16:17], v[74:75], s[14:15], v[228:229] neg_lo:[0,0,1] neg_hi:[0,0,1]
	v_mov_b32_e32 v237, v245
	v_pk_add_f32 v[48:49], v[236:237], v[48:49]
	v_pk_mul_f32 v[236:237], v[238:239], s[48:49]
	v_mov_b32_e32 v243, v17
	v_pk_fma_f32 v[238:239], v[246:247], s[10:11], v[236:237] neg_lo:[1,0,0] neg_hi:[1,0,0]
	v_pk_fma_f32 v[246:247], v[78:79], s[10:11], v[236:237]
	v_pk_fma_f32 v[16:17], v[76:77], s[24:25], v[230:231] neg_lo:[0,0,1] neg_hi:[0,0,1]
	v_mov_b32_e32 v239, v247
	v_pk_add_f32 v[48:49], v[238:239], v[48:49]
	v_pk_mul_f32 v[238:239], v[240:241], s[68:69]
	v_mov_b32_e32 v245, v17
	v_pk_fma_f32 v[16:17], v[78:79], s[10:11], v[236:237] neg_lo:[0,0,1] neg_hi:[0,0,1]
	v_pk_fma_f32 v[240:241], v[188:189], s[38:39], v[238:239] neg_lo:[1,0,0] neg_hi:[1,0,0]
	v_pk_fma_f32 v[254:255], v[188:189], s[38:39], v[238:239]
	v_mov_b32_e32 v247, v17
	v_pk_fma_f32 v[16:17], v[188:189], s[38:39], v[238:239] neg_lo:[0,0,1] neg_hi:[0,0,1]
	v_mov_b32_e32 v241, v255
	v_mov_b32_e32 v255, v17
	v_pk_add_f32 v[16:17], v[64:65], v[248:249]
	v_pk_add_f32 v[48:49], v[240:241], v[48:49]
	;; [unrolled: 1-line block ×3, first 2 shown]
	v_accvgpr_read_b32 v252, a57
	v_pk_add_f32 v[16:17], v[232:233], v[16:17]
	v_pk_fma_f32 v[2:3], v[78:79], s[22:23], v[20:21] neg_lo:[0,0,1] neg_hi:[0,0,1]
	v_pk_add_f32 v[16:17], v[234:235], v[16:17]
	v_mov_b32_e32 v39, v5
	v_pk_add_f32 v[16:17], v[242:243], v[16:17]
	v_pk_fma_f32 v[4:5], v[68:69], s[34:35], v[8:9] neg_lo:[0,0,1] neg_hi:[0,0,1]
	v_pk_add_f32 v[16:17], v[244:245], v[16:17]
	v_mov_b32_e32 v27, v3
	v_pk_add_f32 v[16:17], v[246:247], v[16:17]
	v_pk_fma_f32 v[2:3], v[188:189], s[24:25], v[24:25] neg_lo:[0,0,1] neg_hi:[0,0,1]
	v_pk_add_f32 v[16:17], v[254:255], v[16:17]
	ds_write2_b64 v252, v[48:49], v[16:17] offset0:168 offset1:253
	v_pk_fma_f32 v[16:17], v[66:67], s[16:17], v[30:31] neg_lo:[0,0,1] neg_hi:[0,0,1]
	v_mov_b32_e32 v41, v5
	v_mov_b32_e32 v53, v17
	v_pk_fma_f32 v[16:17], v[68:69], s[24:25], v[54:55] neg_lo:[0,0,1] neg_hi:[0,0,1]
	v_mov_b32_e32 v29, v3
	v_mov_b32_e32 v59, v17
	v_pk_fma_f32 v[16:17], v[70:71], s[18:19], v[56:57] neg_lo:[0,0,1] neg_hi:[0,0,1]
	v_pk_add_f32 v[2:3], v[64:65], v[38:39]
	v_mov_b32_e32 v63, v17
	v_pk_fma_f32 v[16:17], v[72:73], s[40:41], v[60:61] neg_lo:[0,0,1] neg_hi:[0,0,1]
	v_pk_add_f32 v[2:3], v[40:41], v[2:3]
	;; [unrolled: 3-line block ×6, first 2 shown]
	v_mov_b32_e32 v133, v17
	v_pk_add_f32 v[16:17], v[64:65], v[52:53]
	v_pk_add_f32 v[2:3], v[26:27], v[2:3]
	;; [unrolled: 1-line block ×5, first 2 shown]
	v_accvgpr_read_b32 v48, a59
	v_pk_add_f32 v[16:17], v[144:145], v[16:17]
	v_pk_fma_f32 v[4:5], v[68:69], s[22:23], v[158:159] neg_lo:[0,0,1] neg_hi:[0,0,1]
	v_pk_add_f32 v[16:17], v[172:173], v[16:17]
	v_mov_b32_e32 v107, v5
	v_pk_add_f32 v[16:17], v[208:209], v[16:17]
	v_pk_fma_f32 v[4:5], v[70:71], s[34:35], v[130:131] neg_lo:[0,0,1] neg_hi:[0,0,1]
	v_pk_add_f32 v[16:17], v[216:217], v[16:17]
	v_mov_b32_e32 v117, v5
	v_pk_add_f32 v[16:17], v[132:133], v[16:17]
	ds_write2_b64 v48, v[16:17], v[2:3] offset0:82 offset1:167
	v_pk_fma_f32 v[2:3], v[66:67], s[10:11], v[108:109] neg_lo:[0,0,1] neg_hi:[0,0,1]
	v_pk_fma_f32 v[4:5], v[72:73], s[26:27], v[114:115] neg_lo:[0,0,1] neg_hi:[0,0,1]
	v_mov_b32_e32 v153, v3
	v_pk_fma_f32 v[2:3], v[68:69], s[36:37], v[102:103] neg_lo:[0,0,1] neg_hi:[0,0,1]
	v_mov_b32_e32 v119, v5
	v_mov_b32_e32 v155, v3
	v_pk_fma_f32 v[2:3], v[70:71], s[28:29], v[98:99] neg_lo:[0,0,1] neg_hi:[0,0,1]
	v_pk_fma_f32 v[4:5], v[74:75], s[30:31], v[126:127] neg_lo:[0,0,1] neg_hi:[0,0,1]
	v_mov_b32_e32 v167, v3
	v_pk_fma_f32 v[2:3], v[72:73], s[30:31], v[90:91] neg_lo:[0,0,1] neg_hi:[0,0,1]
	v_mov_b32_e32 v121, v5
	v_mov_b32_e32 v169, v3
	;; [unrolled: 6-line block ×4, first 2 shown]
	v_pk_add_f32 v[2:3], v[64:65], v[152:153]
	v_pk_fma_f32 v[4:5], v[188:189], s[28:29], v[110:111] neg_lo:[0,0,1] neg_hi:[0,0,1]
	v_pk_add_f32 v[2:3], v[154:155], v[2:3]
	v_mov_b32_e32 v141, v5
	v_pk_add_f32 v[2:3], v[166:167], v[2:3]
	v_accvgpr_read_b32 v253, a55
	v_pk_add_f32 v[2:3], v[168:169], v[2:3]
	v_accvgpr_read_b32 v254, a53
	v_pk_add_f32 v[2:3], v[170:171], v[2:3]
	v_accvgpr_write_b32 a61, v137
	v_pk_add_f32 v[0:1], v[0:1], v[2:3]
	v_mov_b32_e32 v137, 0
	v_pk_add_f32 v[0:1], v[6:7], v[0:1]
	s_movk_i32 s0, 0x2000
	v_pk_add_f32 v[2:3], v[128:129], v[0:1]
	v_pk_fma_f32 v[0:1], v[66:67], s[18:19], v[156:157] neg_lo:[0,0,1] neg_hi:[0,0,1]
	s_mov_b32 s68, s23
	v_mov_b32_e32 v105, v1
	v_pk_add_f32 v[4:5], v[64:65], v[104:105]
	v_lshl_add_u64 v[0:1], s[8:9], 0, v[136:137]
	v_pk_add_f32 v[4:5], v[106:107], v[4:5]
	v_accvgpr_read_b32 v137, a63
	v_pk_add_f32 v[4:5], v[116:117], v[4:5]
	s_mov_b32 s8, s15
	v_pk_add_f32 v[4:5], v[118:119], v[4:5]
	s_nop 0
	v_pk_add_f32 v[4:5], v[120:121], v[4:5]
	s_nop 0
	v_pk_add_f32 v[4:5], v[122:123], v[4:5]
	s_nop 0
	v_pk_add_f32 v[4:5], v[124:125], v[4:5]
	s_nop 0
	v_pk_add_f32 v[4:5], v[140:141], v[4:5]
	ds_write2_b64 v253, v[2:3], v[4:5] offset0:124 offset1:209
	v_accvgpr_read_b32 v4, a160
	v_accvgpr_read_b32 v5, a161
	v_pk_fma_f32 v[4:5], v[66:67], s[20:21], v[4:5] neg_lo:[0,0,1] neg_hi:[0,0,1]
	v_pk_fma_f32 v[2:3], v[66:67], s[30:31], v[210:211] neg_lo:[0,0,1] neg_hi:[0,0,1]
	v_mov_b32_e32 v195, v5
	v_accvgpr_read_b32 v4, a162
	v_accvgpr_read_b32 v5, a163
	v_pk_fma_f32 v[4:5], v[68:69], s[18:19], v[4:5] neg_lo:[0,0,1] neg_hi:[0,0,1]
	v_mov_b32_e32 v43, v3
	v_mov_b32_e32 v81, v5
	v_accvgpr_read_b32 v4, a164
	v_accvgpr_read_b32 v5, a165
	v_pk_fma_f32 v[4:5], v[70:71], s[14:15], v[4:5] neg_lo:[0,0,1] neg_hi:[0,0,1]
	v_pk_fma_f32 v[2:3], v[68:69], s[14:15], v[206:207] neg_lo:[0,0,1] neg_hi:[0,0,1]
	v_mov_b32_e32 v199, v5
	v_accvgpr_read_b32 v4, a166
	v_mov_b32_e32 v135, v3
	v_pk_fma_f32 v[2:3], v[70:71], s[44:45], v[204:205] neg_lo:[0,0,1] neg_hi:[0,0,1]
	v_accvgpr_read_b32 v5, a167
	v_mov_b32_e32 v13, v3
	v_pk_fma_f32 v[2:3], v[72:73], s[34:35], v[186:187] neg_lo:[0,0,1] neg_hi:[0,0,1]
	v_pk_fma_f32 v[4:5], v[72:73], s[22:23], v[4:5] neg_lo:[0,0,1] neg_hi:[0,0,1]
	v_mov_b32_e32 v113, v3
	v_pk_fma_f32 v[2:3], v[74:75], s[28:29], v[182:183] neg_lo:[0,0,1] neg_hi:[0,0,1]
	v_mov_b32_e32 v201, v5
	;; [unrolled: 2-line block ×9, first 2 shown]
	v_pk_add_f32 v[2:3], v[64:65], v[42:43]
	v_mov_b32_e32 v221, v5
	v_pk_add_f32 v[4:5], v[64:65], v[194:195]
	v_pk_add_f32 v[2:3], v[134:135], v[2:3]
	;; [unrolled: 1-line block ×15, first 2 shown]
	ds_write2_b64 v254, v[2:3], v[4:5] offset0:166 offset1:251
	v_accvgpr_read_b32 v4, a146
	v_accvgpr_read_b32 v5, a147
	v_pk_fma_f32 v[4:5], v[68:69], s[20:21], v[4:5] neg_lo:[0,0,1] neg_hi:[0,0,1]
	v_accvgpr_read_b32 v2, a144
	v_mov_b32_e32 v85, v5
	v_accvgpr_read_b32 v4, a148
	v_accvgpr_read_b32 v5, a149
	v_pk_fma_f32 v[4:5], v[70:71], s[30:31], v[4:5] neg_lo:[0,0,1] neg_hi:[0,0,1]
	v_accvgpr_read_b32 v3, a145
	v_mov_b32_e32 v89, v5
	v_accvgpr_read_b32 v4, a150
	v_accvgpr_read_b32 v5, a151
	v_pk_fma_f32 v[4:5], v[72:73], s[18:19], v[4:5] neg_lo:[0,0,1] neg_hi:[0,0,1]
	v_pk_fma_f32 v[2:3], v[66:67], s[12:13], v[2:3] neg_lo:[0,0,1] neg_hi:[0,0,1]
	v_mov_b32_e32 v83, v5
	v_accvgpr_read_b32 v4, a152
	v_accvgpr_read_b32 v5, a153
	v_pk_fma_f32 v[4:5], v[74:75], s[10:11], v[4:5] neg_lo:[0,0,1] neg_hi:[0,0,1]
	v_mov_b32_e32 v87, v3
	v_mov_b32_e32 v177, v5
	v_accvgpr_read_b32 v4, a154
	v_accvgpr_read_b32 v5, a155
	v_pk_fma_f32 v[4:5], v[76:77], s[14:15], v[4:5] neg_lo:[0,0,1] neg_hi:[0,0,1]
	v_pk_add_f32 v[2:3], v[64:65], v[86:87]
	v_mov_b32_e32 v181, v5
	v_accvgpr_read_b32 v4, a156
	v_pk_add_f32 v[2:3], v[84:85], v[2:3]
	v_accvgpr_read_b32 v5, a157
	v_pk_add_f32 v[2:3], v[88:89], v[2:3]
	v_pk_fma_f32 v[4:5], v[78:79], s[16:17], v[4:5] neg_lo:[0,0,1] neg_hi:[0,0,1]
	v_pk_add_f32 v[2:3], v[82:83], v[2:3]
	v_mov_b32_e32 v185, v5
	v_accvgpr_read_b32 v4, a158
	v_pk_add_f32 v[2:3], v[176:177], v[2:3]
	v_accvgpr_read_b32 v5, a159
	v_pk_add_f32 v[2:3], v[180:181], v[2:3]
	v_pk_fma_f32 v[4:5], v[188:189], s[22:23], v[4:5] neg_lo:[0,0,1] neg_hi:[0,0,1]
	v_pk_add_f32 v[2:3], v[184:185], v[2:3]
	v_mov_b32_e32 v191, v5
	v_pk_add_f32 v[2:3], v[190:191], v[2:3]
	ds_write_b64 v136, v[2:3] offset:10880
	v_add_co_u32_e64 v2, s[0:1], s0, v0
	s_waitcnt lgkmcnt(0)
	s_nop 0
	v_addc_co_u32_e64 v3, s[0:1], 0, v1, s[0:1]
	s_barrier
	global_load_dwordx2 v[6:7], v[2:3], off offset:3368
	s_mov_b64 s[0:1], 0x2d28
	v_lshl_add_u64 v[2:3], v[0:1], 0, s[0:1]
	global_load_dwordx2 v[8:9], v[2:3], off offset:680
	global_load_dwordx2 v[10:11], v[2:3], off offset:1360
	;; [unrolled: 1-line block ×5, first 2 shown]
	s_movk_i32 s0, 0x3000
	v_add_co_u32_e64 v4, s[0:1], s0, v0
	s_nop 1
	v_addc_co_u32_e64 v5, s[0:1], 0, v1, s[0:1]
	global_load_dwordx2 v[18:19], v[4:5], off offset:4032
	global_load_dwordx2 v[20:21], v[2:3], off offset:4080
	s_movk_i32 s0, 0x4000
	v_add_co_u32_e64 v22, s[0:1], s0, v0
	s_nop 1
	v_addc_co_u32_e64 v23, s[0:1], 0, v1, s[0:1]
	global_load_dwordx2 v[24:25], v[22:23], off offset:616
	global_load_dwordx2 v[26:27], v[22:23], off offset:1296
	global_load_dwordx2 v[28:29], v[22:23], off offset:1976
	global_load_dwordx2 v[30:31], v[22:23], off offset:2656
	global_load_dwordx2 v[32:33], v[22:23], off offset:3336
	s_movk_i32 s0, 0x5000
	global_load_dwordx2 v[22:23], v[22:23], off offset:4016
	v_add_co_u32_e64 v0, s[0:1], s0, v0
	ds_read2_b64 v[2:5], v136 offset1:85
	s_nop 0
	v_addc_co_u32_e64 v1, s[0:1], 0, v1, s[0:1]
	global_load_dwordx2 v[34:35], v[0:1], off offset:600
	global_load_dwordx2 v[36:37], v[0:1], off offset:1280
	;; [unrolled: 1-line block ×3, first 2 shown]
	s_mov_b32 s0, s19
	s_waitcnt vmcnt(15) lgkmcnt(0)
	v_mul_f32_e32 v1, v4, v9
	v_mul_f32_e32 v38, v3, v7
	v_fma_f32 v38, v2, v6, -v38
	v_mul_f32_e32 v39, v2, v7
	v_mul_f32_e32 v2, v5, v9
	v_fmac_f32_e32 v39, v3, v6
	v_fma_f32 v0, v4, v8, -v2
	v_fmac_f32_e32 v1, v5, v8
	ds_write2_b64 v136, v[38:39], v[0:1] offset1:85
	ds_read2_b64 v[0:3], v136 offset0:170 offset1:255
	s_waitcnt vmcnt(14) lgkmcnt(0)
	v_mul_f32_e32 v4, v1, v11
	v_fma_f32 v8, v0, v10, -v4
	ds_read2_b64 v[4:7], v137 offset0:84 offset1:169
	v_mul_f32_e32 v9, v0, v11
	v_fmac_f32_e32 v9, v1, v10
	s_waitcnt vmcnt(13)
	v_mul_f32_e32 v0, v3, v13
	v_mul_f32_e32 v1, v2, v13
	v_fma_f32 v0, v2, v12, -v0
	v_fmac_f32_e32 v1, v3, v12
	ds_write2_b64 v136, v[8:9], v[0:1] offset0:170 offset1:255
	s_waitcnt vmcnt(12) lgkmcnt(1)
	v_mul_f32_e32 v0, v5, v15
	v_accvgpr_read_b32 v10, a61
	v_fma_f32 v8, v4, v14, -v0
	ds_read2_b64 v[0:3], v10 offset0:126 offset1:211
	v_mul_f32_e32 v9, v4, v15
	v_fmac_f32_e32 v9, v5, v14
	s_waitcnt vmcnt(11)
	v_mul_f32_e32 v4, v7, v17
	v_mul_f32_e32 v5, v6, v17
	v_fma_f32 v4, v6, v16, -v4
	v_fmac_f32_e32 v5, v7, v16
	ds_write2_b64 v137, v[8:9], v[4:5] offset0:84 offset1:169
	s_waitcnt vmcnt(9) lgkmcnt(1)
	v_mul_f32_e32 v4, v1, v21
	v_fma_f32 v8, v0, v20, -v4
	ds_read2_b64 v[4:7], v252 offset0:168 offset1:253
	v_mul_f32_e32 v9, v0, v21
	v_fmac_f32_e32 v9, v1, v20
	v_mul_f32_e32 v0, v3, v19
	v_mul_f32_e32 v1, v2, v19
	v_fma_f32 v0, v2, v18, -v0
	v_fmac_f32_e32 v1, v3, v18
	ds_write2_b64 v10, v[8:9], v[0:1] offset0:126 offset1:211
	s_waitcnt vmcnt(8) lgkmcnt(1)
	v_mul_f32_e32 v0, v5, v25
	v_accvgpr_read_b32 v10, a59
	v_fma_f32 v8, v4, v24, -v0
	ds_read2_b64 v[0:3], v10 offset0:82 offset1:167
	v_mul_f32_e32 v9, v4, v25
	v_fmac_f32_e32 v9, v5, v24
	s_waitcnt vmcnt(7)
	v_mul_f32_e32 v4, v7, v27
	v_mul_f32_e32 v5, v6, v27
	v_fma_f32 v4, v6, v26, -v4
	v_fmac_f32_e32 v5, v7, v26
	ds_write2_b64 v252, v[8:9], v[4:5] offset0:168 offset1:253
	s_waitcnt vmcnt(6) lgkmcnt(1)
	v_mul_f32_e32 v4, v1, v29
	v_fma_f32 v8, v0, v28, -v4
	ds_read2_b64 v[4:7], v253 offset0:124 offset1:209
	v_mul_f32_e32 v9, v0, v29
	v_fmac_f32_e32 v9, v1, v28
	s_waitcnt vmcnt(5)
	v_mul_f32_e32 v0, v3, v31
	v_mul_f32_e32 v1, v2, v31
	v_fma_f32 v0, v2, v30, -v0
	v_fmac_f32_e32 v1, v3, v30
	ds_write2_b64 v10, v[8:9], v[0:1] offset0:82 offset1:167
	s_waitcnt vmcnt(4) lgkmcnt(1)
	v_mul_f32_e32 v0, v5, v33
	;; [unrolled: 12-line block ×3, first 2 shown]
	v_mul_f32_e32 v5, v0, v35
	v_fma_f32 v4, v0, v34, -v4
	v_fmac_f32_e32 v5, v1, v34
	ds_read_b64 v[0:1], v136 offset:10880
	s_waitcnt vmcnt(1)
	v_mul_f32_e32 v6, v3, v37
	v_mul_f32_e32 v7, v2, v37
	v_fma_f32 v6, v2, v36, -v6
	v_fmac_f32_e32 v7, v3, v36
	s_waitcnt vmcnt(0) lgkmcnt(0)
	v_mul_f32_e32 v2, v1, v41
	v_mul_f32_e32 v3, v0, v41
	v_fma_f32 v2, v0, v40, -v2
	v_fmac_f32_e32 v3, v1, v40
	v_accvgpr_read_b32 v11, a61
	ds_write2_b64 v254, v[4:5], v[6:7] offset0:166 offset1:251
	ds_write_b64 v136, v[2:3] offset:10880
	s_waitcnt lgkmcnt(0)
	s_barrier
	ds_read2_b64 v[64:67], v136 offset1:85
	ds_read2_b64 v[84:87], v11 offset0:126 offset1:211
	ds_read2_b64 v[76:79], v252 offset0:168 offset1:253
	;; [unrolled: 1-line block ×6, first 2 shown]
	ds_read_b64 v[0:1], v136 offset:10880
	ds_read2_b64 v[112:115], v137 offset0:84 offset1:169
	s_waitcnt lgkmcnt(4)
	v_pk_add_f32 v[202:203], v[94:95], v[70:71] neg_lo:[0,1] neg_hi:[0,1]
	v_pk_add_f32 v[200:201], v[70:71], v[94:95]
	v_pk_mul_f32 v[2:3], v[202:203], s[18:19] op_sel_hi:[1,0]
	v_pk_add_f32 v[20:21], v[96:97], v[68:69] neg_lo:[0,1] neg_hi:[0,1]
	v_pk_fma_f32 v[182:183], v[200:201], s[0:1], v[2:3] op_sel:[0,0,1] op_sel_hi:[1,0,0]
	v_pk_fma_f32 v[180:181], v[200:201], s[0:1], v[2:3] op_sel:[0,0,1] op_sel_hi:[1,0,0] neg_lo:[0,0,1] neg_hi:[0,0,1]
	v_pk_add_f32 v[204:205], v[68:69], v[96:97]
	v_pk_mul_f32 v[2:3], v[20:21], s[14:15] op_sel_hi:[1,0]
	s_waitcnt lgkmcnt(0)
	v_pk_add_f32 v[22:23], v[112:113], v[74:75] neg_lo:[0,1] neg_hi:[0,1]
	v_pk_fma_f32 v[188:189], v[204:205], s[8:9], v[2:3] op_sel:[0,0,1] op_sel_hi:[1,0,0]
	v_pk_fma_f32 v[184:185], v[204:205], s[8:9], v[2:3] op_sel:[0,0,1] op_sel_hi:[1,0,0] neg_lo:[0,0,1] neg_hi:[0,0,1]
	v_pk_add_f32 v[210:211], v[74:75], v[112:113]
	v_pk_mul_f32 v[2:3], v[22:23], s[22:23] op_sel_hi:[1,0]
	v_mov_b32_e32 v4, v200
	v_mov_b32_e32 v5, v202
	v_pk_fma_f32 v[190:191], v[210:211], s[68:69], v[2:3] op_sel:[0,0,1] op_sel_hi:[1,0,0]
	v_pk_fma_f32 v[186:187], v[210:211], s[68:69], v[2:3] op_sel:[0,0,1] op_sel_hi:[1,0,0] neg_lo:[0,0,1] neg_hi:[0,0,1]
	v_mov_b32_e32 v2, v203
	v_mov_b32_e32 v3, v201
	v_pk_mul_f32 v[4:5], v[4:5], s[52:53]
	v_mov_b32_e32 v8, v204
	v_mov_b32_e32 v9, v20
	v_pk_fma_f32 v[14:15], v[2:3], s[20:21], v[4:5] neg_lo:[1,0,0] neg_hi:[1,0,0]
	v_pk_fma_f32 v[100:101], v[2:3], s[20:21], v[4:5]
	v_mov_b32_e32 v6, v21
	v_mov_b32_e32 v7, v205
	v_pk_mul_f32 v[8:9], v[8:9], s[58:59]
	v_mov_b32_e32 v16, v210
	v_mov_b32_e32 v17, v22
	v_pk_fma_f32 v[2:3], v[2:3], s[20:21], v[4:5] neg_lo:[0,0,1] neg_hi:[0,0,1]
	v_mov_b32_e32 v15, v101
	v_pk_fma_f32 v[194:195], v[6:7], s[30:31], v[8:9] neg_lo:[1,0,0] neg_hi:[1,0,0]
	v_pk_fma_f32 v[102:103], v[6:7], s[30:31], v[8:9]
	v_mov_b32_e32 v10, v23
	v_mov_b32_e32 v11, v211
	v_pk_mul_f32 v[16:17], v[16:17], s[64:65]
	v_mov_b32_e32 v101, v3
	v_pk_fma_f32 v[2:3], v[6:7], s[30:31], v[8:9] neg_lo:[0,0,1] neg_hi:[0,0,1]
	v_mov_b32_e32 v195, v103
	v_pk_fma_f32 v[18:19], v[10:11], s[18:19], v[16:17] neg_lo:[1,0,0] neg_hi:[1,0,0]
	v_pk_fma_f32 v[110:111], v[10:11], s[18:19], v[16:17]
	v_mov_b32_e32 v103, v3
	v_pk_fma_f32 v[2:3], v[10:11], s[18:19], v[16:17] neg_lo:[0,0,1] neg_hi:[0,0,1]
	v_pk_add_f32 v[222:223], v[114:115], v[72:73] neg_lo:[0,1] neg_hi:[0,1]
	v_mov_b32_e32 v19, v111
	v_mov_b32_e32 v111, v3
	v_pk_add_f32 v[220:221], v[72:73], v[114:115]
	v_pk_mul_f32 v[2:3], v[222:223], s[28:29] op_sel_hi:[1,0]
	v_pk_add_f32 v[226:227], v[84:85], v[82:83] neg_lo:[0,1] neg_hi:[0,1]
	v_pk_fma_f32 v[174:175], v[220:221], s[52:53], v[2:3] op_sel:[0,0,1] op_sel_hi:[1,0,0]
	v_pk_fma_f32 v[88:89], v[220:221], s[52:53], v[2:3] op_sel:[0,0,1] op_sel_hi:[1,0,0] neg_lo:[0,0,1] neg_hi:[0,0,1]
	v_pk_add_f32 v[224:225], v[82:83], v[84:85]
	s_mov_b32 s58, s13
	v_pk_mul_f32 v[2:3], v[226:227], s[12:13] op_sel_hi:[1,0]
	v_pk_add_f32 v[228:229], v[80:81], v[86:87]
	v_pk_add_f32 v[232:233], v[86:87], v[80:81] neg_lo:[0,1] neg_hi:[0,1]
	v_pk_add_f32 v[230:231], v[78:79], v[76:77]
	v_pk_add_f32 v[234:235], v[76:77], v[78:79] neg_lo:[0,1] neg_hi:[0,1]
	v_mov_b32_e32 v26, v220
	v_mov_b32_e32 v27, v222
	v_pk_fma_f32 v[176:177], v[224:225], s[58:59], v[2:3] op_sel:[0,0,1] op_sel_hi:[1,0,0]
	v_pk_fma_f32 v[90:91], v[224:225], s[58:59], v[2:3] op_sel:[0,0,1] op_sel_hi:[1,0,0] neg_lo:[0,0,1] neg_hi:[0,0,1]
	v_pk_mul_f32 v[2:3], v[232:233], s[18:19] op_sel_hi:[1,0]
	v_mov_b32_e32 v10, v223
	v_mov_b32_e32 v11, v221
	v_pk_mul_f32 v[28:29], v[26:27], s[48:49]
	v_mov_b32_e32 v30, v224
	v_mov_b32_e32 v31, v226
	;; [unrolled: 1-line block ×6, first 2 shown]
	v_pk_fma_f32 v[178:179], v[228:229], s[0:1], v[2:3] op_sel:[0,0,1] op_sel_hi:[1,0,0]
	v_pk_fma_f32 v[16:17], v[228:229], s[0:1], v[2:3] op_sel:[0,0,1] op_sel_hi:[1,0,0] neg_lo:[0,0,1] neg_hi:[0,0,1]
	v_pk_fma_f32 v[198:199], v[10:11], s[10:11], v[28:29] neg_lo:[1,0,0] neg_hi:[1,0,0]
	v_pk_fma_f32 v[2:3], v[10:11], s[10:11], v[28:29]
	v_mov_b32_e32 v8, v227
	v_mov_b32_e32 v9, v225
	v_pk_mul_f32 v[32:33], v[30:31], s[50:51]
	v_mov_b32_e32 v44, v233
	v_mov_b32_e32 v45, v229
	v_pk_mul_f32 v[48:49], v[34:35], s[54:55]
	;; [unrolled: 3-line block ×3, first 2 shown]
	v_pk_mul_f32 v[54:55], v[26:27], s[66:67]
	v_pk_fma_f32 v[26:27], v[10:11], s[10:11], v[28:29] neg_lo:[0,0,1] neg_hi:[0,0,1]
	v_mov_b32_e32 v199, v3
	v_pk_fma_f32 v[206:207], v[8:9], s[14:15], v[32:33] neg_lo:[1,0,0] neg_hi:[1,0,0]
	v_pk_fma_f32 v[4:5], v[8:9], s[14:15], v[32:33]
	v_pk_fma_f32 v[214:215], v[44:45], s[16:17], v[48:49] neg_lo:[1,0,0] neg_hi:[1,0,0]
	v_pk_fma_f32 v[6:7], v[44:45], s[16:17], v[48:49]
	;; [unrolled: 2-line block ×3, first 2 shown]
	v_mov_b32_e32 v3, v27
	v_pk_fma_f32 v[26:27], v[8:9], s[14:15], v[32:33] neg_lo:[0,0,1] neg_hi:[0,0,1]
	v_pk_fma_f32 v[32:33], v[44:45], s[16:17], v[48:49] neg_lo:[0,0,1] neg_hi:[0,0,1]
	;; [unrolled: 1-line block ×3, first 2 shown]
	v_mov_b32_e32 v25, v37
	v_mov_b32_e32 v37, v49
	v_pk_add_f32 v[48:49], v[64:65], v[66:67]
	v_pk_add_f32 v[106:107], v[66:67], v[0:1] neg_lo:[0,1] neg_hi:[0,1]
	v_pk_add_f32 v[48:49], v[48:49], v[94:95]
	v_pk_add_f32 v[104:105], v[0:1], v[66:67]
	;; [unrolled: 1-line block ×3, first 2 shown]
	v_pk_mul_f32 v[52:53], v[106:107], s[20:21] op_sel_hi:[1,0]
	v_pk_add_f32 v[48:49], v[48:49], v[112:113]
	v_pk_fma_f32 v[94:95], v[104:105], s[52:53], v[52:53] op_sel:[0,0,1] op_sel_hi:[1,0,0]
	v_pk_add_f32 v[48:49], v[48:49], v[114:115]
	v_pk_fma_f32 v[96:97], v[104:105], s[52:53], v[52:53] op_sel:[0,0,1] op_sel_hi:[1,0,0] neg_lo:[0,0,1] neg_hi:[0,0,1]
	v_pk_add_f32 v[48:49], v[48:49], v[84:85]
	v_mov_b32_e32 v52, v94
	v_pk_add_f32 v[48:49], v[48:49], v[86:87]
	v_mov_b32_e32 v53, v97
	;; [unrolled: 2-line block ×4, first 2 shown]
	v_pk_add_f32 v[52:53], v[64:65], v[52:53]
	v_pk_add_f32 v[48:49], v[48:49], v[80:81]
	v_mov_b32_e32 v108, v188
	v_mov_b32_e32 v109, v185
	v_pk_add_f32 v[52:53], v[98:99], v[52:53]
	v_mov_b32_e32 v58, v104
	v_mov_b32_e32 v59, v106
	;; [unrolled: 3-line block ×3, first 2 shown]
	v_mov_b32_e32 v56, v107
	v_mov_b32_e32 v57, v105
	v_pk_mul_f32 v[58:59], v[58:59], s[42:43]
	v_pk_add_f32 v[52:53], v[108:109], v[52:53]
	v_pk_add_f32 v[48:49], v[48:49], v[72:73]
	v_pk_fma_f32 v[242:243], v[56:57], s[12:13], v[58:59] neg_lo:[1,0,0] neg_hi:[1,0,0]
	v_pk_add_f32 v[12:13], v[12:13], v[52:53]
	v_pk_fma_f32 v[52:53], v[56:57], s[12:13], v[58:59]
	v_pk_fma_f32 v[56:57], v[56:57], s[12:13], v[58:59] neg_lo:[0,0,1] neg_hi:[0,0,1]
	s_mov_b32 s42, s31
	v_pk_mul_f32 v[60:61], v[106:107], s[30:31] op_sel_hi:[1,0]
	v_pk_add_f32 v[48:49], v[48:49], v[74:75]
	v_mov_b32_e32 v243, v53
	v_mov_b32_e32 v53, v57
	v_pk_fma_f32 v[76:77], v[104:105], s[42:43], v[60:61] op_sel:[0,0,1] op_sel_hi:[1,0,0]
	v_pk_fma_f32 v[66:67], v[104:105], s[42:43], v[60:61] op_sel:[0,0,1] op_sel_hi:[1,0,0] neg_lo:[0,0,1] neg_hi:[0,0,1]
	v_pk_mul_f32 v[62:63], v[202:203], s[14:15] op_sel_hi:[1,0]
	v_pk_add_f32 v[48:49], v[48:49], v[68:69]
	v_pk_add_f32 v[52:53], v[64:65], v[52:53]
	v_mov_b32_e32 v60, v76
	v_mov_b32_e32 v61, v67
	v_pk_fma_f32 v[80:81], v[200:201], s[8:9], v[62:63] op_sel:[0,0,1] op_sel_hi:[1,0,0]
	v_pk_fma_f32 v[78:79], v[200:201], s[8:9], v[62:63] op_sel:[0,0,1] op_sel_hi:[1,0,0] neg_lo:[0,0,1] neg_hi:[0,0,1]
	v_pk_mul_f32 v[72:73], v[20:21], s[44:45] op_sel_hi:[1,0]
	v_pk_add_f32 v[48:49], v[48:49], v[70:71]
	v_pk_add_f32 v[52:53], v[100:101], v[52:53]
	v_mov_b32_e32 v62, v80
	v_mov_b32_e32 v63, v79
	v_pk_fma_f32 v[70:71], v[204:205], s[68:69], v[72:73] op_sel:[0,0,1] op_sel_hi:[1,0,0]
	v_pk_fma_f32 v[68:69], v[204:205], s[68:69], v[72:73] op_sel:[0,0,1] op_sel_hi:[1,0,0] neg_lo:[0,0,1] neg_hi:[0,0,1]
	s_mov_b32 s44, s11
	v_pk_add_f32 v[0:1], v[48:49], v[0:1]
	v_pk_mul_f32 v[48:49], v[22:23], s[34:35] op_sel_hi:[1,0]
	v_pk_add_f32 v[60:61], v[64:65], v[60:61]
	v_pk_fma_f32 v[218:219], v[10:11], s[36:37], v[54:55] neg_lo:[1,0,0] neg_hi:[1,0,0]
	v_pk_fma_f32 v[28:29], v[10:11], s[36:37], v[54:55]
	v_pk_mul_f32 v[30:31], v[30:31], s[62:63]
	v_pk_add_f32 v[52:53], v[102:103], v[52:53]
	v_mov_b32_e32 v82, v70
	v_mov_b32_e32 v83, v69
	v_pk_add_f32 v[60:61], v[62:63], v[60:61]
	v_pk_fma_f32 v[74:75], v[210:211], s[44:45], v[48:49] op_sel:[0,0,1] op_sel_hi:[1,0,0]
	v_pk_fma_f32 v[72:73], v[210:211], s[44:45], v[48:49] op_sel:[0,0,1] op_sel_hi:[1,0,0] neg_lo:[0,0,1] neg_hi:[0,0,1]
	v_pk_fma_f32 v[10:11], v[10:11], s[36:37], v[54:55] neg_lo:[0,0,1] neg_hi:[0,0,1]
	v_mov_b32_e32 v207, v5
	v_mov_b32_e32 v215, v7
	v_mov_b32_e32 v219, v29
	v_mov_b32_e32 v5, v27
	v_pk_fma_f32 v[26:27], v[8:9], s[34:35], v[30:31] neg_lo:[1,0,0] neg_hi:[1,0,0]
	v_mov_b32_e32 v7, v33
	v_pk_fma_f32 v[32:33], v[8:9], s[34:35], v[30:31]
	v_pk_add_f32 v[52:53], v[110:111], v[52:53]
	v_pk_add_f32 v[48:49], v[82:83], v[60:61]
	v_mov_b32_e32 v60, v74
	v_mov_b32_e32 v61, v73
	;; [unrolled: 1-line block ×3, first 2 shown]
	v_pk_fma_f32 v[8:9], v[8:9], s[34:35], v[30:31] neg_lo:[0,0,1] neg_hi:[0,0,1]
	v_mov_b32_e32 v40, v174
	v_mov_b32_e32 v41, v89
	;; [unrolled: 1-line block ×3, first 2 shown]
	v_pk_mul_f32 v[34:35], v[34:35], s[56:57]
	v_pk_add_f32 v[48:49], v[60:61], v[48:49]
	v_pk_add_f32 v[10:11], v[28:29], v[12:13]
	v_mov_b32_e32 v33, v9
	v_pk_add_f32 v[2:3], v[2:3], v[52:53]
	v_mov_b32_e32 v42, v176
	v_mov_b32_e32 v43, v91
	v_pk_fma_f32 v[156:157], v[44:45], s[24:25], v[34:35] neg_lo:[1,0,0] neg_hi:[1,0,0]
	v_pk_fma_f32 v[56:57], v[44:45], s[24:25], v[34:35]
	v_pk_mul_f32 v[50:51], v[50:51], s[46:47]
	s_mov_b32 s46, s17
	v_pk_mul_f32 v[60:61], v[234:235], s[16:17] op_sel_hi:[1,0]
	v_pk_add_f32 v[40:41], v[40:41], v[48:49]
	v_pk_add_f32 v[8:9], v[32:33], v[10:11]
	v_pk_fma_f32 v[10:11], v[44:45], s[24:25], v[34:35] neg_lo:[0,0,1] neg_hi:[0,0,1]
	v_pk_add_f32 v[2:3], v[4:5], v[2:3]
	v_mov_b32_e32 v38, v178
	v_mov_b32_e32 v39, v17
	;; [unrolled: 1-line block ×3, first 2 shown]
	v_pk_fma_f32 v[244:245], v[46:47], s[26:27], v[50:51] neg_lo:[1,0,0] neg_hi:[1,0,0]
	v_pk_fma_f32 v[58:59], v[46:47], s[26:27], v[50:51]
	v_pk_fma_f32 v[84:85], v[230:231], s[46:47], v[60:61] op_sel:[0,0,1] op_sel_hi:[1,0,0]
	v_pk_fma_f32 v[82:83], v[230:231], s[46:47], v[60:61] op_sel:[0,0,1] op_sel_hi:[1,0,0] neg_lo:[0,0,1] neg_hi:[0,0,1]
	v_pk_add_f32 v[40:41], v[42:43], v[40:41]
	v_mov_b32_e32 v57, v11
	v_pk_fma_f32 v[10:11], v[46:47], s[26:27], v[50:51] neg_lo:[0,0,1] neg_hi:[0,0,1]
	v_pk_add_f32 v[2:3], v[6:7], v[2:3]
	v_mov_b32_e32 v245, v59
	v_mov_b32_e32 v42, v84
	;; [unrolled: 1-line block ×3, first 2 shown]
	v_pk_add_f32 v[38:39], v[38:39], v[40:41]
	v_pk_add_f32 v[8:9], v[56:57], v[8:9]
	v_mov_b32_e32 v59, v11
	v_pk_add_f32 v[2:3], v[36:37], v[2:3]
	v_accvgpr_read_b32 v70, a19
	v_pk_add_f32 v[8:9], v[58:59], v[8:9]
	v_pk_add_f32 v[10:11], v[42:43], v[38:39]
	s_barrier
	ds_write2_b64 v70, v[0:1], v[2:3] offset1:1
	ds_write2_b64 v70, v[8:9], v[10:11] offset0:2 offset1:3
	v_pk_mul_f32 v[0:1], v[106:107], s[18:19] op_sel_hi:[1,0]
	v_pk_mul_f32 v[2:3], v[202:203], s[22:23] op_sel_hi:[1,0]
	v_pk_fma_f32 v[100:101], v[104:105], s[0:1], v[0:1] op_sel:[0,0,1] op_sel_hi:[1,0,0]
	v_pk_fma_f32 v[86:87], v[104:105], s[0:1], v[0:1] op_sel:[0,0,1] op_sel_hi:[1,0,0] neg_lo:[0,0,1] neg_hi:[0,0,1]
	v_mov_b32_e32 v0, v100
	v_mov_b32_e32 v1, v87
	v_pk_fma_f32 v[112:113], v[200:201], s[68:69], v[2:3] op_sel:[0,0,1] op_sel_hi:[1,0,0]
	v_pk_fma_f32 v[98:99], v[200:201], s[68:69], v[2:3] op_sel:[0,0,1] op_sel_hi:[1,0,0] neg_lo:[0,0,1] neg_hi:[0,0,1]
	v_pk_mul_f32 v[4:5], v[20:21], s[34:35] op_sel_hi:[1,0]
	v_mov_b32_e32 v2, v112
	v_mov_b32_e32 v3, v99
	v_pk_fma_f32 v[114:115], v[204:205], s[44:45], v[4:5] op_sel:[0,0,1] op_sel_hi:[1,0,0]
	v_pk_fma_f32 v[102:103], v[204:205], s[44:45], v[4:5] op_sel:[0,0,1] op_sel_hi:[1,0,0] neg_lo:[0,0,1] neg_hi:[0,0,1]
	v_pk_mul_f32 v[6:7], v[22:23], s[26:27] op_sel_hi:[1,0]
	v_pk_add_f32 v[0:1], v[64:65], v[0:1]
	v_mov_b32_e32 v4, v114
	v_mov_b32_e32 v5, v103
	v_pk_fma_f32 v[12:13], v[210:211], s[58:59], v[6:7] op_sel:[0,0,1] op_sel_hi:[1,0,0]
	v_pk_fma_f32 v[28:29], v[210:211], s[58:59], v[6:7] op_sel:[0,0,1] op_sel_hi:[1,0,0] neg_lo:[0,0,1] neg_hi:[0,0,1]
	v_pk_add_f32 v[0:1], v[2:3], v[0:1]
	v_pk_mul_f32 v[2:3], v[222:223], s[30:31] op_sel_hi:[1,0]
	v_mov_b32_e32 v6, v12
	v_mov_b32_e32 v7, v29
	v_pk_add_f32 v[0:1], v[4:5], v[0:1]
	v_pk_fma_f32 v[128:129], v[220:221], s[42:43], v[2:3] op_sel:[0,0,1] op_sel_hi:[1,0,0]
	v_pk_fma_f32 v[134:135], v[220:221], s[42:43], v[2:3] op_sel:[0,0,1] op_sel_hi:[1,0,0] neg_lo:[0,0,1] neg_hi:[0,0,1]
	v_pk_mul_f32 v[4:5], v[226:227], s[16:17] op_sel_hi:[1,0]
	v_pk_add_f32 v[0:1], v[6:7], v[0:1]
	v_mov_b32_e32 v2, v128
	v_mov_b32_e32 v3, v135
	v_pk_fma_f32 v[158:159], v[224:225], s[46:47], v[4:5] op_sel:[0,0,1] op_sel_hi:[1,0,0]
	v_pk_fma_f32 v[146:147], v[224:225], s[46:47], v[4:5] op_sel:[0,0,1] op_sel_hi:[1,0,0] neg_lo:[0,0,1] neg_hi:[0,0,1]
	v_mov_b32_e32 v4, v158
	v_mov_b32_e32 v5, v147
	v_pk_add_f32 v[0:1], v[2:3], v[0:1]
	v_pk_mul_f32 v[2:3], v[106:107], s[10:11] op_sel_hi:[1,0]
	v_pk_add_f32 v[0:1], v[4:5], v[0:1]
	v_pk_fma_f32 v[116:117], v[104:105], s[44:45], v[2:3] op_sel:[0,0,1] op_sel_hi:[1,0,0]
	v_pk_fma_f32 v[108:109], v[104:105], s[44:45], v[2:3] op_sel:[0,0,1] op_sel_hi:[1,0,0] neg_lo:[0,0,1] neg_hi:[0,0,1]
	v_pk_mul_f32 v[4:5], v[202:203], s[36:37] op_sel_hi:[1,0]
	v_mov_b32_e32 v2, v116
	v_mov_b32_e32 v3, v109
	v_pk_fma_f32 v[118:119], v[200:201], s[46:47], v[4:5] op_sel:[0,0,1] op_sel_hi:[1,0,0]
	v_pk_fma_f32 v[110:111], v[200:201], s[46:47], v[4:5] op_sel:[0,0,1] op_sel_hi:[1,0,0] neg_lo:[0,0,1] neg_hi:[0,0,1]
	v_mov_b32_e32 v4, v118
	v_mov_b32_e32 v5, v111
	v_pk_add_f32 v[2:3], v[64:65], v[2:3]
	v_pk_mul_f32 v[6:7], v[232:233], s[40:41] op_sel_hi:[1,0]
	v_pk_add_f32 v[2:3], v[4:5], v[2:3]
	v_pk_mul_f32 v[4:5], v[20:21], s[28:29] op_sel_hi:[1,0]
	v_pk_fma_f32 v[236:237], v[228:229], s[8:9], v[6:7] op_sel:[0,0,1] op_sel_hi:[1,0,0]
	v_pk_fma_f32 v[124:125], v[204:205], s[52:53], v[4:5] op_sel:[0,0,1] op_sel_hi:[1,0,0]
	v_pk_fma_f32 v[120:121], v[204:205], s[52:53], v[4:5] op_sel:[0,0,1] op_sel_hi:[1,0,0] neg_lo:[0,0,1] neg_hi:[0,0,1]
	v_pk_fma_f32 v[160:161], v[228:229], s[8:9], v[6:7] op_sel:[0,0,1] op_sel_hi:[1,0,0] neg_lo:[0,0,1] neg_hi:[0,0,1]
	v_mov_b32_e32 v4, v124
	v_mov_b32_e32 v5, v121
	;; [unrolled: 1-line block ×4, first 2 shown]
	v_pk_add_f32 v[2:3], v[4:5], v[2:3]
	v_pk_mul_f32 v[4:5], v[22:23], s[30:31] op_sel_hi:[1,0]
	v_pk_add_f32 v[0:1], v[6:7], v[0:1]
	v_pk_fma_f32 v[6:7], v[210:211], s[42:43], v[4:5] op_sel:[0,0,1] op_sel_hi:[1,0,0]
	v_pk_fma_f32 v[126:127], v[210:211], s[42:43], v[4:5] op_sel:[0,0,1] op_sel_hi:[1,0,0] neg_lo:[0,0,1] neg_hi:[0,0,1]
	v_mov_b32_e32 v4, v6
	v_mov_b32_e32 v5, v127
	v_pk_add_f32 v[2:3], v[4:5], v[2:3]
	v_pk_mul_f32 v[4:5], v[222:223], s[22:23] op_sel_hi:[1,0]
	v_pk_mul_f32 v[8:9], v[234:235], s[28:29] op_sel_hi:[1,0]
	v_pk_fma_f32 v[44:45], v[220:221], s[68:69], v[4:5] op_sel:[0,0,1] op_sel_hi:[1,0,0]
	v_pk_fma_f32 v[122:123], v[220:221], s[68:69], v[4:5] op_sel:[0,0,1] op_sel_hi:[1,0,0] neg_lo:[0,0,1] neg_hi:[0,0,1]
	v_mov_b32_e32 v4, v44
	v_mov_b32_e32 v5, v123
	v_pk_add_f32 v[2:3], v[4:5], v[2:3]
	v_pk_mul_f32 v[4:5], v[226:227], s[38:39] op_sel_hi:[1,0]
	v_pk_fma_f32 v[240:241], v[230:231], s[52:53], v[8:9] op_sel:[0,0,1] op_sel_hi:[1,0,0]
	v_pk_fma_f32 v[140:141], v[224:225], s[0:1], v[4:5] op_sel:[0,0,1] op_sel_hi:[1,0,0]
	v_pk_fma_f32 v[138:139], v[224:225], s[0:1], v[4:5] op_sel:[0,0,1] op_sel_hi:[1,0,0] neg_lo:[0,0,1] neg_hi:[0,0,1]
	v_mov_b32_e32 v4, v140
	v_mov_b32_e32 v5, v139
	v_pk_add_f32 v[2:3], v[4:5], v[2:3]
	v_pk_mul_f32 v[4:5], v[232:233], s[12:13] op_sel_hi:[1,0]
	v_pk_fma_f32 v[238:239], v[230:231], s[52:53], v[8:9] op_sel:[0,0,1] op_sel_hi:[1,0,0] neg_lo:[0,0,1] neg_hi:[0,0,1]
	v_pk_fma_f32 v[130:131], v[228:229], s[58:59], v[4:5] op_sel:[0,0,1] op_sel_hi:[1,0,0]
	v_pk_fma_f32 v[142:143], v[228:229], s[58:59], v[4:5] op_sel:[0,0,1] op_sel_hi:[1,0,0] neg_lo:[0,0,1] neg_hi:[0,0,1]
	v_mov_b32_e32 v4, v130
	v_mov_b32_e32 v5, v143
	v_pk_add_f32 v[2:3], v[4:5], v[2:3]
	v_pk_mul_f32 v[4:5], v[234:235], s[14:15] op_sel_hi:[1,0]
	v_mov_b32_e32 v8, v240
	v_pk_fma_f32 v[248:249], v[230:231], s[8:9], v[4:5] op_sel:[0,0,1] op_sel_hi:[1,0,0]
	v_pk_fma_f32 v[246:247], v[230:231], s[8:9], v[4:5] op_sel:[0,0,1] op_sel_hi:[1,0,0] neg_lo:[0,0,1] neg_hi:[0,0,1]
	v_mov_b32_e32 v9, v239
	v_mov_b32_e32 v4, v248
	;; [unrolled: 1-line block ×3, first 2 shown]
	v_pk_add_f32 v[0:1], v[8:9], v[0:1]
	v_pk_add_f32 v[2:3], v[4:5], v[2:3]
	ds_write2_b64 v70, v[0:1], v[2:3] offset0:4 offset1:5
	v_pk_mul_f32 v[0:1], v[106:107], s[14:15] op_sel_hi:[1,0]
	v_pk_mul_f32 v[2:3], v[202:203], s[34:35] op_sel_hi:[1,0]
	v_pk_fma_f32 v[8:9], v[104:105], s[8:9], v[0:1] op_sel:[0,0,1] op_sel_hi:[1,0,0]
	v_pk_fma_f32 v[152:153], v[104:105], s[8:9], v[0:1] op_sel:[0,0,1] op_sel_hi:[1,0,0] neg_lo:[0,0,1] neg_hi:[0,0,1]
	v_mov_b32_e32 v0, v8
	v_mov_b32_e32 v1, v153
	v_pk_fma_f32 v[10:11], v[200:201], s[44:45], v[2:3] op_sel:[0,0,1] op_sel_hi:[1,0,0]
	v_pk_fma_f32 v[154:155], v[200:201], s[44:45], v[2:3] op_sel:[0,0,1] op_sel_hi:[1,0,0] neg_lo:[0,0,1] neg_hi:[0,0,1]
	v_mov_b32_e32 v2, v10
	v_mov_b32_e32 v3, v155
	v_pk_add_f32 v[0:1], v[64:65], v[0:1]
	v_pk_mul_f32 v[42:43], v[202:203], s[24:25] op_sel_hi:[1,0]
	v_pk_add_f32 v[2:3], v[2:3], v[0:1]
	v_pk_mul_f32 v[0:1], v[20:21], s[12:13] op_sel_hi:[1,0]
	v_pk_fma_f32 v[48:49], v[200:201], s[42:43], v[42:43] op_sel:[0,0,1] op_sel_hi:[1,0,0]
	v_pk_fma_f32 v[4:5], v[204:205], s[58:59], v[0:1] op_sel:[0,0,1] op_sel_hi:[1,0,0]
	v_pk_fma_f32 v[0:1], v[204:205], s[58:59], v[0:1] op_sel:[0,0,1] op_sel_hi:[1,0,0] neg_lo:[0,0,1] neg_hi:[0,0,1]
	v_mov_b32_e32 v30, v4
	v_mov_b32_e32 v31, v1
	v_pk_add_f32 v[2:3], v[30:31], v[2:3]
	v_pk_mul_f32 v[30:31], v[22:23], s[16:17] op_sel_hi:[1,0]
	v_pk_fma_f32 v[42:43], v[200:201], s[42:43], v[42:43] op_sel:[0,0,1] op_sel_hi:[1,0,0] neg_lo:[0,0,1] neg_hi:[0,0,1]
	v_pk_fma_f32 v[166:167], v[210:211], s[46:47], v[30:31] op_sel:[0,0,1] op_sel_hi:[1,0,0]
	v_pk_fma_f32 v[46:47], v[210:211], s[46:47], v[30:31] op_sel:[0,0,1] op_sel_hi:[1,0,0] neg_lo:[0,0,1] neg_hi:[0,0,1]
	v_mov_b32_e32 v30, v166
	v_mov_b32_e32 v31, v47
	v_pk_add_f32 v[30:31], v[30:31], v[2:3]
	v_pk_mul_f32 v[2:3], v[222:223], s[38:39] op_sel_hi:[1,0]
	v_mov_b32_e32 v50, v48
	v_pk_fma_f32 v[168:169], v[220:221], s[0:1], v[2:3] op_sel:[0,0,1] op_sel_hi:[1,0,0]
	v_pk_fma_f32 v[2:3], v[220:221], s[0:1], v[2:3] op_sel:[0,0,1] op_sel_hi:[1,0,0] neg_lo:[0,0,1] neg_hi:[0,0,1]
	v_mov_b32_e32 v32, v168
	v_mov_b32_e32 v33, v3
	v_pk_add_f32 v[30:31], v[32:33], v[30:31]
	v_pk_mul_f32 v[32:33], v[226:227], s[20:21] op_sel_hi:[1,0]
	v_mov_b32_e32 v51, v43
	v_pk_fma_f32 v[38:39], v[224:225], s[52:53], v[32:33] op_sel:[0,0,1] op_sel_hi:[1,0,0]
	v_pk_fma_f32 v[36:37], v[224:225], s[52:53], v[32:33] op_sel:[0,0,1] op_sel_hi:[1,0,0] neg_lo:[0,0,1] neg_hi:[0,0,1]
	v_mov_b32_e32 v32, v38
	v_mov_b32_e32 v33, v37
	v_pk_add_f32 v[30:31], v[32:33], v[30:31]
	v_pk_mul_f32 v[32:33], v[232:233], s[22:23] op_sel_hi:[1,0]
	v_pk_mul_f32 v[216:217], v[234:235], s[38:39] op_sel_hi:[1,0]
	v_pk_fma_f32 v[150:151], v[228:229], s[68:69], v[32:33] op_sel:[0,0,1] op_sel_hi:[1,0,0]
	v_pk_fma_f32 v[148:149], v[228:229], s[68:69], v[32:33] op_sel:[0,0,1] op_sel_hi:[1,0,0] neg_lo:[0,0,1] neg_hi:[0,0,1]
	v_mov_b32_e32 v32, v150
	v_mov_b32_e32 v33, v149
	v_pk_add_f32 v[30:31], v[32:33], v[30:31]
	v_pk_mul_f32 v[32:33], v[234:235], s[24:25] op_sel_hi:[1,0]
	v_mov_b32_e32 v97, v95
	v_pk_fma_f32 v[250:251], v[230:231], s[42:43], v[32:33] op_sel:[0,0,1] op_sel_hi:[1,0,0]
	v_pk_fma_f32 v[170:171], v[230:231], s[42:43], v[32:33] op_sel:[0,0,1] op_sel_hi:[1,0,0] neg_lo:[0,0,1] neg_hi:[0,0,1]
	v_mov_b32_e32 v32, v250
	v_mov_b32_e32 v33, v171
	v_pk_add_f32 v[30:31], v[32:33], v[30:31]
	v_pk_mul_f32 v[32:33], v[106:107], s[16:17] op_sel_hi:[1,0]
	v_mov_b32_e32 v181, v183
	v_pk_fma_f32 v[34:35], v[104:105], s[46:47], v[32:33] op_sel:[0,0,1] op_sel_hi:[1,0,0]
	v_pk_fma_f32 v[32:33], v[104:105], s[46:47], v[32:33] op_sel:[0,0,1] op_sel_hi:[1,0,0] neg_lo:[0,0,1] neg_hi:[0,0,1]
	v_mov_b32_e32 v40, v34
	v_mov_b32_e32 v41, v33
	v_pk_add_f32 v[40:41], v[64:65], v[40:41]
	v_mov_b32_e32 v185, v189
	v_pk_add_f32 v[40:41], v[50:51], v[40:41]
	v_pk_mul_f32 v[50:51], v[20:21], s[18:19] op_sel_hi:[1,0]
	v_pk_mul_f32 v[20:21], v[20:21], s[16:17] op_sel_hi:[1,0]
	v_pk_fma_f32 v[52:53], v[204:205], s[0:1], v[50:51] op_sel:[0,0,1] op_sel_hi:[1,0,0]
	v_pk_fma_f32 v[50:51], v[204:205], s[0:1], v[50:51] op_sel:[0,0,1] op_sel_hi:[1,0,0] neg_lo:[0,0,1] neg_hi:[0,0,1]
	v_mov_b32_e32 v54, v52
	v_mov_b32_e32 v55, v51
	v_pk_add_f32 v[40:41], v[54:55], v[40:41]
	v_pk_mul_f32 v[54:55], v[22:23], s[40:41] op_sel_hi:[1,0]
	v_pk_mul_f32 v[22:23], v[22:23], s[28:29] op_sel_hi:[1,0]
	v_pk_fma_f32 v[56:57], v[210:211], s[8:9], v[54:55] op_sel:[0,0,1] op_sel_hi:[1,0,0]
	v_pk_fma_f32 v[54:55], v[210:211], s[8:9], v[54:55] op_sel:[0,0,1] op_sel_hi:[1,0,0] neg_lo:[0,0,1] neg_hi:[0,0,1]
	v_mov_b32_e32 v58, v56
	v_mov_b32_e32 v59, v55
	v_pk_add_f32 v[40:41], v[58:59], v[40:41]
	v_pk_mul_f32 v[58:59], v[222:223], s[12:13] op_sel_hi:[1,0]
	v_pk_fma_f32 v[192:193], v[210:211], s[52:53], v[22:23] op_sel:[0,0,1] op_sel_hi:[1,0,0]
	v_pk_fma_f32 v[60:61], v[220:221], s[58:59], v[58:59] op_sel:[0,0,1] op_sel_hi:[1,0,0]
	v_pk_fma_f32 v[58:59], v[220:221], s[58:59], v[58:59] op_sel:[0,0,1] op_sel_hi:[1,0,0] neg_lo:[0,0,1] neg_hi:[0,0,1]
	v_mov_b32_e32 v62, v60
	v_mov_b32_e32 v63, v59
	v_pk_add_f32 v[40:41], v[62:63], v[40:41]
	v_pk_mul_f32 v[62:63], v[226:227], s[22:23] op_sel_hi:[1,0]
	v_pk_fma_f32 v[22:23], v[210:211], s[52:53], v[22:23] op_sel:[0,0,1] op_sel_hi:[1,0,0] neg_lo:[0,0,1] neg_hi:[0,0,1]
	v_pk_fma_f32 v[92:93], v[224:225], s[68:69], v[62:63] op_sel:[0,0,1] op_sel_hi:[1,0,0]
	v_pk_fma_f32 v[62:63], v[224:225], s[68:69], v[62:63] op_sel:[0,0,1] op_sel_hi:[1,0,0] neg_lo:[0,0,1] neg_hi:[0,0,1]
	v_mov_b32_e32 v132, v92
	v_mov_b32_e32 v133, v63
	v_pk_add_f32 v[40:41], v[132:133], v[40:41]
	v_pk_mul_f32 v[132:133], v[232:233], s[28:29] op_sel_hi:[1,0]
	v_pk_mul_f32 v[210:211], v[232:233], s[10:11] op_sel_hi:[1,0]
	v_pk_fma_f32 v[144:145], v[228:229], s[52:53], v[132:133] op_sel:[0,0,1] op_sel_hi:[1,0,0]
	v_pk_fma_f32 v[132:133], v[228:229], s[52:53], v[132:133] op_sel:[0,0,1] op_sel_hi:[1,0,0] neg_lo:[0,0,1] neg_hi:[0,0,1]
	v_mov_b32_e32 v162, v144
	v_mov_b32_e32 v163, v133
	v_pk_add_f32 v[40:41], v[162:163], v[40:41]
	v_pk_mul_f32 v[162:163], v[234:235], s[10:11] op_sel_hi:[1,0]
	v_pk_fma_f32 v[212:213], v[228:229], s[44:45], v[210:211] op_sel:[0,0,1] op_sel_hi:[1,0,0]
	v_pk_fma_f32 v[164:165], v[230:231], s[44:45], v[162:163] op_sel:[0,0,1] op_sel_hi:[1,0,0]
	v_pk_fma_f32 v[162:163], v[230:231], s[44:45], v[162:163] op_sel:[0,0,1] op_sel_hi:[1,0,0] neg_lo:[0,0,1] neg_hi:[0,0,1]
	v_mov_b32_e32 v172, v164
	v_mov_b32_e32 v173, v163
	v_pk_add_f32 v[40:41], v[172:173], v[40:41]
	ds_write2_b64 v70, v[30:31], v[40:41] offset0:6 offset1:7
	v_pk_mul_f32 v[30:31], v[106:107], s[22:23] op_sel_hi:[1,0]
	v_pk_fma_f32 v[172:173], v[204:205], s[46:47], v[20:21] op_sel:[0,0,1] op_sel_hi:[1,0,0]
	v_pk_fma_f32 v[40:41], v[104:105], s[68:69], v[30:31] op_sel:[0,0,1] op_sel_hi:[1,0,0]
	v_pk_fma_f32 v[30:31], v[104:105], s[68:69], v[30:31] op_sel:[0,0,1] op_sel_hi:[1,0,0] neg_lo:[0,0,1] neg_hi:[0,0,1]
	v_pk_mul_f32 v[104:105], v[202:203], s[26:27] op_sel_hi:[1,0]
	v_mov_b32_e32 v196, v40
	v_pk_fma_f32 v[106:107], v[200:201], s[58:59], v[104:105] op_sel:[0,0,1] op_sel_hi:[1,0,0]
	v_pk_fma_f32 v[104:105], v[200:201], s[58:59], v[104:105] op_sel:[0,0,1] op_sel_hi:[1,0,0] neg_lo:[0,0,1] neg_hi:[0,0,1]
	v_mov_b32_e32 v197, v31
	v_pk_fma_f32 v[20:21], v[204:205], s[46:47], v[20:21] op_sel:[0,0,1] op_sel_hi:[1,0,0] neg_lo:[0,0,1] neg_hi:[0,0,1]
	v_mov_b32_e32 v200, v106
	v_mov_b32_e32 v201, v105
	v_pk_add_f32 v[196:197], v[64:65], v[196:197]
	v_mov_b32_e32 v31, v41
	v_pk_add_f32 v[196:197], v[200:201], v[196:197]
	v_mov_b32_e32 v200, v172
	v_mov_b32_e32 v201, v21
	v_pk_add_f32 v[196:197], v[200:201], v[196:197]
	v_mov_b32_e32 v200, v192
	v_mov_b32_e32 v201, v23
	;; [unrolled: 1-line block ×3, first 2 shown]
	v_pk_add_f32 v[30:31], v[64:65], v[30:31]
	v_pk_add_f32 v[196:197], v[200:201], v[196:197]
	v_pk_mul_f32 v[200:201], v[222:223], s[14:15] op_sel_hi:[1,0]
	v_mov_b32_e32 v21, v173
	v_pk_add_f32 v[30:31], v[104:105], v[30:31]
	v_pk_fma_f32 v[202:203], v[220:221], s[8:9], v[200:201] op_sel:[0,0,1] op_sel_hi:[1,0,0]
	v_pk_fma_f32 v[200:201], v[220:221], s[8:9], v[200:201] op_sel:[0,0,1] op_sel_hi:[1,0,0] neg_lo:[0,0,1] neg_hi:[0,0,1]
	v_pk_mul_f32 v[204:205], v[226:227], s[24:25] op_sel_hi:[1,0]
	v_mov_b32_e32 v23, v193
	v_pk_add_f32 v[20:21], v[20:21], v[30:31]
	v_pk_fma_f32 v[208:209], v[224:225], s[42:43], v[204:205] op_sel:[0,0,1] op_sel_hi:[1,0,0]
	v_pk_fma_f32 v[204:205], v[224:225], s[42:43], v[204:205] op_sel:[0,0,1] op_sel_hi:[1,0,0] neg_lo:[0,0,1] neg_hi:[0,0,1]
	v_mov_b32_e32 v222, v202
	v_mov_b32_e32 v223, v201
	v_pk_add_f32 v[20:21], v[22:23], v[20:21]
	v_mov_b32_e32 v201, v203
	v_pk_fma_f32 v[210:211], v[228:229], s[44:45], v[210:211] op_sel:[0,0,1] op_sel_hi:[1,0,0] neg_lo:[0,0,1] neg_hi:[0,0,1]
	v_pk_add_f32 v[196:197], v[222:223], v[196:197]
	v_mov_b32_e32 v222, v208
	v_mov_b32_e32 v223, v205
	;; [unrolled: 1-line block ×3, first 2 shown]
	v_pk_add_f32 v[20:21], v[200:201], v[20:21]
	v_pk_fma_f32 v[220:221], v[230:231], s[0:1], v[216:217] op_sel:[0,0,1] op_sel_hi:[1,0,0]
	v_pk_fma_f32 v[216:217], v[230:231], s[0:1], v[216:217] op_sel:[0,0,1] op_sel_hi:[1,0,0] neg_lo:[0,0,1] neg_hi:[0,0,1]
	v_pk_add_f32 v[196:197], v[222:223], v[196:197]
	v_mov_b32_e32 v222, v212
	v_mov_b32_e32 v223, v211
	;; [unrolled: 1-line block ×3, first 2 shown]
	v_pk_add_f32 v[20:21], v[204:205], v[20:21]
	v_pk_add_f32 v[196:197], v[222:223], v[196:197]
	v_mov_b32_e32 v222, v220
	v_mov_b32_e32 v223, v217
	;; [unrolled: 1-line block ×3, first 2 shown]
	v_pk_add_f32 v[20:21], v[210:211], v[20:21]
	v_pk_add_f32 v[196:197], v[222:223], v[196:197]
	;; [unrolled: 1-line block ×3, first 2 shown]
	ds_write2_b64 v70, v[196:197], v[20:21] offset0:8 offset1:9
	v_pk_add_f32 v[20:21], v[64:65], v[242:243]
	v_mov_b32_e32 v187, v191
	v_pk_add_f32 v[14:15], v[14:15], v[20:21]
	v_pk_add_f32 v[20:21], v[64:65], v[96:97]
	;; [unrolled: 1-line block ×9, first 2 shown]
	v_mov_b32_e32 v33, v35
	v_pk_add_f32 v[14:15], v[214:215], v[14:15]
	v_mov_b32_e32 v153, v9
	v_pk_add_f32 v[96:97], v[24:25], v[14:15]
	v_pk_add_f32 v[14:15], v[218:219], v[18:19]
	v_mov_b32_e32 v43, v49
	v_pk_add_f32 v[14:15], v[26:27], v[14:15]
	v_mov_b32_e32 v155, v11
	;; [unrolled: 2-line block ×3, first 2 shown]
	v_pk_add_f32 v[94:95], v[244:245], v[14:15]
	v_pk_add_f32 v[14:15], v[64:65], v[32:33]
	;; [unrolled: 1-line block ×3, first 2 shown]
	v_mov_b32_e32 v51, v53
	v_pk_add_f32 v[14:15], v[42:43], v[14:15]
	v_pk_add_f32 v[4:5], v[154:155], v[4:5]
	v_mov_b32_e32 v55, v57
	v_pk_add_f32 v[14:15], v[50:51], v[14:15]
	v_mov_b32_e32 v47, v167
	v_pk_add_f32 v[0:1], v[0:1], v[4:5]
	v_pk_add_f32 v[14:15], v[54:55], v[14:15]
	v_mov_b32_e32 v59, v61
	v_pk_add_f32 v[0:1], v[46:47], v[0:1]
	v_mov_b32_e32 v3, v169
	v_mov_b32_e32 v63, v93
	v_pk_add_f32 v[14:15], v[58:59], v[14:15]
	v_mov_b32_e32 v37, v39
	v_pk_add_f32 v[0:1], v[2:3], v[0:1]
	;; [unrolled: 2-line block ×6, first 2 shown]
	v_pk_add_f32 v[14:15], v[162:163], v[14:15]
	v_pk_add_f32 v[0:1], v[170:171], v[0:1]
	v_mov_b32_e32 v109, v117
	v_mov_b32_e32 v87, v101
	ds_write2_b64 v70, v[14:15], v[0:1] offset0:10 offset1:11
	v_mov_b32_e32 v111, v119
	v_pk_add_f32 v[0:1], v[64:65], v[108:109]
	v_mov_b32_e32 v99, v113
	v_pk_add_f32 v[2:3], v[64:65], v[86:87]
	;; [unrolled: 2-line block ×6, first 2 shown]
	v_pk_add_f32 v[0:1], v[126:127], v[0:1]
	v_mov_b32_e32 v123, v45
	v_pk_add_f32 v[2:3], v[28:29], v[2:3]
	v_mov_b32_e32 v135, v129
	v_mov_b32_e32 v139, v141
	v_pk_add_f32 v[0:1], v[122:123], v[0:1]
	v_mov_b32_e32 v147, v159
	v_pk_add_f32 v[2:3], v[134:135], v[2:3]
	;; [unrolled: 2-line block ×6, first 2 shown]
	v_pk_add_f32 v[0:1], v[246:247], v[0:1]
	v_pk_add_f32 v[2:3], v[238:239], v[2:3]
	v_mov_b32_e32 v67, v77
	ds_write2_b64 v70, v[0:1], v[2:3] offset0:12 offset1:13
	v_mov_b32_e32 v79, v81
	v_pk_add_f32 v[0:1], v[64:65], v[66:67]
	v_mov_b32_e32 v69, v71
	v_pk_add_f32 v[0:1], v[78:79], v[0:1]
	;; [unrolled: 2-line block ×7, first 2 shown]
	v_accvgpr_read_b32 v116, a140
	v_pk_add_f32 v[0:1], v[82:83], v[0:1]
	ds_write2_b64 v70, v[0:1], v[94:95] offset0:14 offset1:15
	ds_write_b64 v70, v[96:97] offset:128
	v_add_u32_e32 v0, 0x400, v136
	s_waitcnt lgkmcnt(0)
	s_barrier
	ds_read2_b64 v[80:83], v136 offset1:85
	ds_read2_b64 v[64:67], v0 offset0:42 offset1:161
	ds_read2_b64 v[88:91], v252 offset0:66 offset1:151
	v_add_u32_e32 v0, 0x1400, v136
	ds_read2_b64 v[72:75], v0 offset0:108 offset1:227
	ds_read2_b64 v[84:87], v254 offset0:132 offset1:217
	;; [unrolled: 1-line block ×4, first 2 shown]
	ds_read_b64 v[0:1], v136 offset:10608
	v_accvgpr_read_b32 v108, a132
	v_accvgpr_read_b32 v120, a136
	;; [unrolled: 1-line block ×59, first 2 shown]
	v_mov_b32_e32 v98, v109
	v_mov_b32_e32 v100, v113
	;; [unrolled: 1-line block ×4, first 2 shown]
	s_and_saveexec_b64 s[0:1], vcc
	s_cbranch_execz .LBB0_7
; %bb.6:
	ds_read_b64 v[94:95], v136 offset:2040
	ds_read_b64 v[96:97], v136 offset:4352
	ds_read_b64 a[68:69], v136 offset:6664
	ds_read_b64 a[66:67], v136 offset:8976
	ds_read_b64 a[64:65], v136 offset:11288
.LBB0_7:
	s_or_b64 exec, exec, s[0:1]
	s_waitcnt lgkmcnt(6)
	v_pk_mul_f32 v[2:3], v[188:189], v[66:67]
	s_waitcnt lgkmcnt(5)
	v_pk_mul_f32 v[4:5], v[56:57], v[88:89]
	;; [unrolled: 2-line block ×3, first 2 shown]
	v_pk_fma_f32 v[26:27], v[40:41], v[66:67], v[2:3] op_sel:[0,0,1] op_sel_hi:[1,1,0]
	v_pk_fma_f32 v[2:3], v[40:41], v[66:67], v[2:3] op_sel:[0,0,1] op_sel_hi:[1,1,0] neg_lo:[0,0,1] neg_hi:[0,0,1]
	v_pk_mul_f32 v[6:7], v[34:35], v[74:75]
	v_mov_b32_e32 v27, v3
	v_pk_fma_f32 v[2:3], v[42:43], v[88:89], v[4:5] op_sel:[0,0,1] op_sel_hi:[1,1,0]
	v_pk_fma_f32 v[4:5], v[42:43], v[88:89], v[4:5] op_sel:[0,0,1] op_sel_hi:[1,1,0] neg_lo:[0,0,1] neg_hi:[0,0,1]
	v_pk_mul_f32 v[8:9], v[18:19], v[84:85]
	v_mov_b32_e32 v3, v5
	v_pk_fma_f32 v[4:5], v[30:31], v[74:75], v[6:7] op_sel:[0,0,1] op_sel_hi:[1,1,0]
	v_pk_fma_f32 v[6:7], v[30:31], v[74:75], v[6:7] op_sel:[0,0,1] op_sel_hi:[1,1,0] neg_lo:[0,0,1] neg_hi:[0,0,1]
	s_mov_b32 s0, 0x3f737871
	v_mov_b32_e32 v5, v7
	v_pk_fma_f32 v[6:7], v[32:33], v[84:85], v[8:9] op_sel:[0,0,1] op_sel_hi:[1,1,0]
	v_pk_fma_f32 v[8:9], v[32:33], v[84:85], v[8:9] op_sel:[0,0,1] op_sel_hi:[1,1,0] neg_lo:[0,0,1] neg_hi:[0,0,1]
	v_pk_add_f32 v[28:29], v[2:3], v[4:5]
	v_mov_b32_e32 v7, v9
	v_pk_add_f32 v[30:31], v[26:27], v[6:7] neg_lo:[0,1] neg_hi:[0,1]
	v_pk_fma_f32 v[28:29], v[28:29], 0.5, v[80:81] op_sel_hi:[1,0,1] neg_lo:[1,0,0] neg_hi:[1,0,0]
	v_pk_mul_f32 v[32:33], v[30:31], s[0:1] op_sel_hi:[1,0]
	v_pk_add_f32 v[34:35], v[2:3], v[4:5] neg_lo:[0,1] neg_hi:[0,1]
	s_mov_b32 s8, 0x3f167918
	v_pk_add_f32 v[38:39], v[26:27], v[2:3] neg_lo:[0,1] neg_hi:[0,1]
	v_pk_add_f32 v[40:41], v[6:7], v[4:5] neg_lo:[0,1] neg_hi:[0,1]
	v_pk_add_f32 v[8:9], v[80:81], v[26:27]
	v_pk_mul_f32 v[36:37], v[34:35], s[8:9] op_sel_hi:[1,0]
	v_pk_add_f32 v[38:39], v[38:39], v[40:41]
	v_pk_add_f32 v[40:41], v[28:29], v[32:33] op_sel:[0,1] op_sel_hi:[1,0] neg_lo:[0,1] neg_hi:[0,1]
	v_pk_add_f32 v[28:29], v[28:29], v[32:33] op_sel:[0,1] op_sel_hi:[1,0]
	v_pk_add_f32 v[8:9], v[8:9], v[2:3]
	v_pk_add_f32 v[28:29], v[28:29], v[36:37] op_sel:[0,1] op_sel_hi:[1,0]
	v_pk_add_f32 v[32:33], v[40:41], v[36:37] op_sel:[0,1] op_sel_hi:[1,0] neg_lo:[0,1] neg_hi:[0,1]
	v_pk_add_f32 v[8:9], v[8:9], v[4:5]
	s_mov_b32 s10, 0x3e9e377a
	v_mov_b32_e32 v36, v32
	v_mov_b32_e32 v37, v29
	v_pk_add_f32 v[8:9], v[8:9], v[6:7]
	v_pk_fma_f32 v[36:37], v[38:39], s[10:11], v[36:37] op_sel_hi:[1,0,1]
	v_accvgpr_read_b32 v32, a47
	s_waitcnt lgkmcnt(0)
	s_barrier
	ds_write2_b64 v32, v[8:9], v[36:37] offset1:17
	v_pk_add_f32 v[8:9], v[26:27], v[6:7]
	v_pk_add_f32 v[2:3], v[2:3], v[26:27] neg_lo:[0,1] neg_hi:[0,1]
	v_pk_add_f32 v[4:5], v[4:5], v[6:7] neg_lo:[0,1] neg_hi:[0,1]
	v_pk_fma_f32 v[8:9], v[8:9], 0.5, v[80:81] op_sel_hi:[1,0,1] neg_lo:[1,0,0] neg_hi:[1,0,0]
	v_pk_add_f32 v[2:3], v[2:3], v[4:5]
	v_pk_mul_f32 v[4:5], v[34:35], s[0:1] op_sel_hi:[1,0]
	v_pk_mul_f32 v[6:7], v[30:31], s[8:9] op_sel_hi:[1,0]
	v_pk_add_f32 v[26:27], v[8:9], v[4:5] op_sel:[0,1] op_sel_hi:[1,0]
	v_pk_add_f32 v[4:5], v[8:9], v[4:5] op_sel:[0,1] op_sel_hi:[1,0] neg_lo:[0,1] neg_hi:[0,1]
	v_mov_b32_e32 v29, v33
	v_pk_add_f32 v[4:5], v[4:5], v[6:7] op_sel:[0,1] op_sel_hi:[1,0]
	v_pk_add_f32 v[6:7], v[26:27], v[6:7] op_sel:[0,1] op_sel_hi:[1,0] neg_lo:[0,1] neg_hi:[0,1]
	v_mov_b32_e32 v9, v5
	v_mov_b32_e32 v8, v6
	;; [unrolled: 1-line block ×3, first 2 shown]
	v_pk_fma_f32 v[8:9], v[2:3], s[10:11], v[8:9] op_sel_hi:[1,0,1]
	v_pk_fma_f32 v[2:3], v[2:3], s[10:11], v[4:5] op_sel_hi:[1,0,1]
	v_pk_mul_f32 v[10:11], v[172:173], v[76:77]
	ds_write2_b64 v32, v[8:9], v[2:3] offset0:34 offset1:51
	v_pk_fma_f32 v[2:3], v[38:39], s[10:11], v[28:29] op_sel_hi:[1,0,1]
	v_pk_mul_f32 v[12:13], v[60:61], v[90:91]
	ds_write_b64 v32, v[2:3] offset:544
	v_pk_fma_f32 v[2:3], v[184:185], v[76:77], v[10:11] op_sel:[0,0,1] op_sel_hi:[1,1,0]
	v_pk_fma_f32 v[4:5], v[184:185], v[76:77], v[10:11] op_sel:[0,0,1] op_sel_hi:[1,1,0] neg_lo:[0,0,1] neg_hi:[0,0,1]
	v_pk_fma_f32 v[6:7], v[186:187], v[90:91], v[12:13] op_sel:[0,0,1] op_sel_hi:[1,1,0] neg_lo:[0,0,1] neg_hi:[0,0,1]
	v_mov_b32_e32 v3, v5
	v_pk_fma_f32 v[4:5], v[186:187], v[90:91], v[12:13] op_sel:[0,0,1] op_sel_hi:[1,1,0]
	v_pk_mul_f32 v[16:17], v[20:21], v[86:87]
	v_mov_b32_e32 v5, v7
	v_pk_fma_f32 v[6:7], v[180:181], v[68:69], v[14:15] op_sel:[0,0,1] op_sel_hi:[1,1,0]
	v_pk_fma_f32 v[8:9], v[180:181], v[68:69], v[14:15] op_sel:[0,0,1] op_sel_hi:[1,1,0] neg_lo:[0,0,1] neg_hi:[0,0,1]
	v_pk_fma_f32 v[10:11], v[182:183], v[86:87], v[16:17] op_sel:[0,0,1] op_sel_hi:[1,1,0] neg_lo:[0,0,1] neg_hi:[0,0,1]
	v_mov_b32_e32 v7, v9
	v_pk_fma_f32 v[8:9], v[182:183], v[86:87], v[16:17] op_sel:[0,0,1] op_sel_hi:[1,1,0]
	v_pk_add_f32 v[12:13], v[4:5], v[6:7]
	v_mov_b32_e32 v9, v11
	v_pk_add_f32 v[14:15], v[2:3], v[8:9] neg_lo:[0,1] neg_hi:[0,1]
	v_pk_fma_f32 v[12:13], v[12:13], 0.5, v[82:83] op_sel_hi:[1,0,1] neg_lo:[1,0,0] neg_hi:[1,0,0]
	v_pk_mul_f32 v[16:17], v[14:15], s[0:1] op_sel_hi:[1,0]
	v_pk_add_f32 v[26:27], v[4:5], v[6:7] neg_lo:[0,1] neg_hi:[0,1]
	v_pk_add_f32 v[30:31], v[2:3], v[4:5] neg_lo:[0,1] neg_hi:[0,1]
	;; [unrolled: 1-line block ×3, first 2 shown]
	v_pk_add_f32 v[10:11], v[82:83], v[2:3]
	v_pk_mul_f32 v[28:29], v[26:27], s[8:9] op_sel_hi:[1,0]
	v_pk_add_f32 v[30:31], v[30:31], v[32:33]
	v_pk_add_f32 v[32:33], v[12:13], v[16:17] op_sel:[0,1] op_sel_hi:[1,0] neg_lo:[0,1] neg_hi:[0,1]
	v_pk_add_f32 v[12:13], v[12:13], v[16:17] op_sel:[0,1] op_sel_hi:[1,0]
	v_pk_add_f32 v[10:11], v[10:11], v[4:5]
	v_pk_add_f32 v[12:13], v[12:13], v[28:29] op_sel:[0,1] op_sel_hi:[1,0]
	v_pk_add_f32 v[16:17], v[32:33], v[28:29] op_sel:[0,1] op_sel_hi:[1,0] neg_lo:[0,1] neg_hi:[0,1]
	v_pk_add_f32 v[10:11], v[10:11], v[6:7]
	v_mov_b32_e32 v28, v16
	v_mov_b32_e32 v29, v13
	v_pk_add_f32 v[10:11], v[10:11], v[8:9]
	v_pk_fma_f32 v[28:29], v[30:31], s[10:11], v[28:29] op_sel_hi:[1,0,1]
	v_accvgpr_read_b32 v16, a49
	ds_write2_b64 v16, v[10:11], v[28:29] offset1:17
	v_pk_add_f32 v[10:11], v[2:3], v[8:9]
	v_pk_add_f32 v[2:3], v[4:5], v[2:3] neg_lo:[0,1] neg_hi:[0,1]
	v_pk_add_f32 v[4:5], v[6:7], v[8:9] neg_lo:[0,1] neg_hi:[0,1]
	v_pk_fma_f32 v[10:11], v[10:11], 0.5, v[82:83] op_sel_hi:[1,0,1] neg_lo:[1,0,0] neg_hi:[1,0,0]
	v_pk_add_f32 v[2:3], v[2:3], v[4:5]
	v_pk_mul_f32 v[4:5], v[26:27], s[0:1] op_sel_hi:[1,0]
	v_pk_mul_f32 v[6:7], v[14:15], s[8:9] op_sel_hi:[1,0]
	v_pk_add_f32 v[8:9], v[10:11], v[4:5] op_sel:[0,1] op_sel_hi:[1,0]
	v_pk_add_f32 v[4:5], v[10:11], v[4:5] op_sel:[0,1] op_sel_hi:[1,0] neg_lo:[0,1] neg_hi:[0,1]
	v_mov_b32_e32 v13, v17
	v_pk_add_f32 v[4:5], v[4:5], v[6:7] op_sel:[0,1] op_sel_hi:[1,0]
	v_pk_add_f32 v[6:7], v[8:9], v[6:7] op_sel:[0,1] op_sel_hi:[1,0] neg_lo:[0,1] neg_hi:[0,1]
	v_mov_b32_e32 v9, v5
	v_mov_b32_e32 v8, v6
	;; [unrolled: 1-line block ×3, first 2 shown]
	v_pk_fma_f32 v[8:9], v[2:3], s[10:11], v[8:9] op_sel_hi:[1,0,1]
	v_pk_fma_f32 v[2:3], v[2:3], s[10:11], v[4:5] op_sel_hi:[1,0,1]
	v_pk_mul_f32 v[18:19], v[156:157], v[78:79]
	ds_write2_b64 v16, v[8:9], v[2:3] offset0:34 offset1:51
	v_pk_fma_f32 v[2:3], v[30:31], s[10:11], v[12:13] op_sel_hi:[1,0,1]
	v_pk_mul_f32 v[20:21], v[106:107], v[72:73]
	ds_write_b64 v16, v[2:3] offset:544
	v_pk_fma_f32 v[2:3], v[52:53], v[78:79], v[18:19] op_sel:[0,0,1] op_sel_hi:[1,1,0]
	v_pk_fma_f32 v[4:5], v[52:53], v[78:79], v[18:19] op_sel:[0,0,1] op_sel_hi:[1,1,0] neg_lo:[0,0,1] neg_hi:[0,0,1]
	v_pk_mul_f32 v[22:23], v[22:23], v[70:71]
	v_mov_b32_e32 v3, v5
	v_pk_fma_f32 v[4:5], v[54:55], v[72:73], v[20:21] op_sel:[0,0,1] op_sel_hi:[1,1,0]
	v_pk_fma_f32 v[6:7], v[54:55], v[72:73], v[20:21] op_sel:[0,0,1] op_sel_hi:[1,1,0] neg_lo:[0,0,1] neg_hi:[0,0,1]
	v_pk_mul_f32 v[24:25], v[24:25], v[0:1]
	v_mov_b32_e32 v5, v7
	v_pk_fma_f32 v[6:7], v[48:49], v[70:71], v[22:23] op_sel:[0,0,1] op_sel_hi:[1,1,0]
	v_pk_fma_f32 v[8:9], v[48:49], v[70:71], v[22:23] op_sel:[0,0,1] op_sel_hi:[1,1,0] neg_lo:[0,0,1] neg_hi:[0,0,1]
	v_pk_add_f32 v[20:21], v[2:3], v[4:5] neg_lo:[0,1] neg_hi:[0,1]
	v_mov_b32_e32 v7, v9
	v_pk_fma_f32 v[8:9], v[50:51], v[0:1], v[24:25] op_sel:[0,0,1] op_sel_hi:[1,1,0]
	v_pk_fma_f32 v[0:1], v[50:51], v[0:1], v[24:25] op_sel:[0,0,1] op_sel_hi:[1,1,0] neg_lo:[0,0,1] neg_hi:[0,0,1]
	v_pk_add_f32 v[10:11], v[4:5], v[6:7]
	v_mov_b32_e32 v9, v1
	v_pk_add_f32 v[12:13], v[2:3], v[8:9] neg_lo:[0,1] neg_hi:[0,1]
	v_pk_fma_f32 v[10:11], v[10:11], 0.5, v[64:65] op_sel_hi:[1,0,1] neg_lo:[1,0,0] neg_hi:[1,0,0]
	v_pk_mul_f32 v[14:15], v[12:13], s[0:1] op_sel_hi:[1,0]
	v_pk_add_f32 v[16:17], v[4:5], v[6:7] neg_lo:[0,1] neg_hi:[0,1]
	v_pk_add_f32 v[22:23], v[8:9], v[6:7] neg_lo:[0,1] neg_hi:[0,1]
	v_pk_add_f32 v[0:1], v[64:65], v[2:3]
	v_pk_mul_f32 v[18:19], v[16:17], s[8:9] op_sel_hi:[1,0]
	v_pk_add_f32 v[20:21], v[20:21], v[22:23]
	v_pk_add_f32 v[22:23], v[10:11], v[14:15] op_sel:[0,1] op_sel_hi:[1,0] neg_lo:[0,1] neg_hi:[0,1]
	v_pk_add_f32 v[10:11], v[10:11], v[14:15] op_sel:[0,1] op_sel_hi:[1,0]
	v_pk_add_f32 v[0:1], v[0:1], v[4:5]
	v_pk_add_f32 v[10:11], v[10:11], v[18:19] op_sel:[0,1] op_sel_hi:[1,0]
	v_pk_add_f32 v[14:15], v[22:23], v[18:19] op_sel:[0,1] op_sel_hi:[1,0] neg_lo:[0,1] neg_hi:[0,1]
	v_pk_add_f32 v[0:1], v[0:1], v[6:7]
	v_mov_b32_e32 v18, v14
	v_mov_b32_e32 v19, v11
	v_pk_add_f32 v[0:1], v[0:1], v[8:9]
	v_pk_fma_f32 v[18:19], v[20:21], s[10:11], v[18:19] op_sel_hi:[1,0,1]
	v_accvgpr_read_b32 v14, a51
	ds_write2_b64 v14, v[0:1], v[18:19] offset1:17
	v_pk_add_f32 v[0:1], v[2:3], v[8:9]
	v_pk_add_f32 v[2:3], v[4:5], v[2:3] neg_lo:[0,1] neg_hi:[0,1]
	v_pk_add_f32 v[4:5], v[6:7], v[8:9] neg_lo:[0,1] neg_hi:[0,1]
	v_pk_fma_f32 v[0:1], v[0:1], 0.5, v[64:65] op_sel_hi:[1,0,1] neg_lo:[1,0,0] neg_hi:[1,0,0]
	v_pk_add_f32 v[2:3], v[2:3], v[4:5]
	v_pk_mul_f32 v[4:5], v[16:17], s[0:1] op_sel_hi:[1,0]
	v_pk_mul_f32 v[6:7], v[12:13], s[8:9] op_sel_hi:[1,0]
	v_pk_add_f32 v[8:9], v[0:1], v[4:5] op_sel:[0,1] op_sel_hi:[1,0]
	v_pk_add_f32 v[0:1], v[0:1], v[4:5] op_sel:[0,1] op_sel_hi:[1,0] neg_lo:[0,1] neg_hi:[0,1]
	v_pk_add_f32 v[4:5], v[8:9], v[6:7] op_sel:[0,1] op_sel_hi:[1,0] neg_lo:[0,1] neg_hi:[0,1]
	v_pk_add_f32 v[0:1], v[0:1], v[6:7] op_sel:[0,1] op_sel_hi:[1,0]
	v_accvgpr_read_b32 v44, a78
	v_mov_b32_e32 v6, v4
	v_mov_b32_e32 v7, v1
	;; [unrolled: 1-line block ×3, first 2 shown]
	v_accvgpr_read_b32 v46, a80
	v_pk_fma_f32 v[6:7], v[2:3], s[10:11], v[6:7] op_sel_hi:[1,0,1]
	v_pk_fma_f32 v[0:1], v[2:3], s[10:11], v[0:1] op_sel_hi:[1,0,1]
	v_mov_b32_e32 v11, v15
	v_accvgpr_read_b32 v45, a79
	v_mov_b32_e32 v47, v46
	v_accvgpr_read_b32 v124, a124
	v_accvgpr_read_b32 v125, a124
	v_mov_b32_e32 v121, v120
	v_mov_b32_e32 v105, v104
	v_mov_b32_e32 v123, v122
	v_accvgpr_read_b32 v126, a126
	v_accvgpr_read_b32 v127, a126
	v_mov_b32_e32 v117, v116
	v_mov_b32_e32 v103, v102
	;; [unrolled: 5-line block ×4, first 2 shown]
	v_mov_b32_e32 v111, v110
	v_accvgpr_read_b32 v58, a118
	v_accvgpr_read_b32 v59, a118
	ds_write2_b64 v14, v[6:7], v[0:1] offset0:34 offset1:51
	v_pk_fma_f32 v[0:1], v[20:21], s[10:11], v[10:11] op_sel_hi:[1,0,1]
	ds_write_b64 v14, v[0:1] offset:544
	s_and_saveexec_b64 s[12:13], vcc
	s_cbranch_execz .LBB0_9
; %bb.8:
	v_accvgpr_read_b32 v14, a42
	v_accvgpr_read_b32 v24, a68
	;; [unrolled: 1-line block ×5, first 2 shown]
	s_movk_i32 s1, 0x55
	v_accvgpr_read_b32 v8, a21
	v_accvgpr_read_b32 v9, a46
	;; [unrolled: 1-line block ×3, first 2 shown]
	v_pk_mul_f32 v[0:1], v[16:17], v[24:25] op_sel:[0,1]
	v_accvgpr_read_b32 v10, a38
	v_accvgpr_read_b32 v20, a66
	v_mad_legacy_u16 v8, v8, s1, v9
	v_pk_mul_f32 v[2:3], v[14:15], v[96:97] op_sel:[0,1]
	v_accvgpr_read_b32 v11, a39
	v_accvgpr_read_b32 v21, a67
	;; [unrolled: 1-line block ×3, first 2 shown]
	v_lshlrev_b32_e32 v22, 3, v8
	v_pk_fma_f32 v[8:9], v[16:17], v[24:25], v[0:1] op_sel:[0,0,1] op_sel_hi:[1,1,0]
	v_pk_fma_f32 v[0:1], v[16:17], v[24:25], v[0:1] op_sel:[0,0,1] op_sel_hi:[1,0,0] neg_lo:[1,0,0] neg_hi:[1,0,0]
	v_accvgpr_read_b32 v12, a40
	v_accvgpr_read_b32 v13, a41
	v_pk_mul_f32 v[4:5], v[10:11], v[20:21] op_sel:[0,1]
	v_accvgpr_read_b32 v19, a65
	v_mov_b32_e32 v9, v1
	v_pk_fma_f32 v[0:1], v[14:15], v[96:97], v[2:3] op_sel:[0,0,1] op_sel_hi:[1,1,0]
	v_pk_fma_f32 v[2:3], v[14:15], v[96:97], v[2:3] op_sel:[0,0,1] op_sel_hi:[1,0,0] neg_lo:[1,0,0] neg_hi:[1,0,0]
	v_pk_mul_f32 v[6:7], v[12:13], v[18:19] op_sel:[0,1]
	v_mov_b32_e32 v1, v3
	v_pk_fma_f32 v[2:3], v[10:11], v[20:21], v[4:5] op_sel:[0,0,1] op_sel_hi:[1,1,0]
	v_pk_fma_f32 v[4:5], v[10:11], v[20:21], v[4:5] op_sel:[0,0,1] op_sel_hi:[1,0,0] neg_lo:[1,0,0] neg_hi:[1,0,0]
	v_pk_add_f32 v[14:15], v[0:1], v[8:9] neg_lo:[0,1] neg_hi:[0,1]
	v_mov_b32_e32 v3, v5
	v_pk_fma_f32 v[4:5], v[12:13], v[18:19], v[6:7] op_sel:[0,0,1] op_sel_hi:[1,1,0]
	v_pk_fma_f32 v[6:7], v[12:13], v[18:19], v[6:7] op_sel:[0,0,1] op_sel_hi:[1,0,0] neg_lo:[1,0,0] neg_hi:[1,0,0]
	v_pk_add_f32 v[12:13], v[8:9], v[2:3]
	v_mov_b32_e32 v5, v7
	v_pk_add_f32 v[10:11], v[0:1], v[4:5] neg_lo:[0,1] neg_hi:[0,1]
	v_pk_fma_f32 v[12:13], v[12:13], 0.5, v[94:95] op_sel_hi:[1,0,1] neg_lo:[1,0,0] neg_hi:[1,0,0]
	v_pk_add_f32 v[16:17], v[4:5], v[2:3] neg_lo:[0,1] neg_hi:[0,1]
	v_pk_add_f32 v[6:7], v[8:9], v[2:3] neg_lo:[0,1] neg_hi:[0,1]
	v_pk_add_f32 v[14:15], v[14:15], v[16:17]
	v_pk_fma_f32 v[16:17], v[10:11], s[0:1], v[12:13] op_sel:[1,0,0] op_sel_hi:[0,0,1]
	v_pk_fma_f32 v[12:13], v[10:11], s[0:1], v[12:13] op_sel:[1,0,0] op_sel_hi:[0,0,1] neg_lo:[1,0,0] neg_hi:[1,0,0]
	v_pk_add_f32 v[20:21], v[94:95], v[0:1]
	v_pk_fma_f32 v[12:13], v[6:7], s[8:9], v[12:13] op_sel:[1,0,0] op_sel_hi:[0,0,1] neg_lo:[1,0,0] neg_hi:[1,0,0]
	v_pk_fma_f32 v[16:17], v[6:7], s[8:9], v[16:17] op_sel:[1,0,0] op_sel_hi:[0,0,1]
	v_pk_add_f32 v[20:21], v[20:21], v[8:9]
	v_mov_b32_e32 v19, v13
	v_pk_add_f32 v[20:21], v[20:21], v[2:3]
	v_mov_b32_e32 v13, v17
	v_pk_add_f32 v[20:21], v[20:21], v[4:5]
	v_pk_fma_f32 v[12:13], v[14:15], s[10:11], v[12:13] op_sel_hi:[1,0,1]
	ds_write2_b64 v22, v[20:21], v[12:13] offset1:17
	v_pk_add_f32 v[12:13], v[0:1], v[4:5]
	v_pk_add_f32 v[0:1], v[8:9], v[0:1] neg_lo:[0,1] neg_hi:[0,1]
	v_pk_fma_f32 v[12:13], v[12:13], 0.5, v[94:95] op_sel_hi:[1,0,1] neg_lo:[1,0,0] neg_hi:[1,0,0]
	v_pk_add_f32 v[2:3], v[2:3], v[4:5] neg_lo:[0,1] neg_hi:[0,1]
	v_pk_fma_f32 v[4:5], v[6:7], s[0:1], v[12:13] op_sel:[1,0,0] op_sel_hi:[0,0,1]
	v_pk_add_f32 v[0:1], v[0:1], v[2:3]
	v_pk_fma_f32 v[2:3], v[6:7], s[0:1], v[12:13] op_sel:[1,0,0] op_sel_hi:[0,0,1] neg_lo:[1,0,0] neg_hi:[1,0,0]
	v_pk_fma_f32 v[4:5], v[10:11], s[8:9], v[4:5] op_sel:[1,0,0] op_sel_hi:[0,0,1] neg_lo:[1,0,0] neg_hi:[1,0,0]
	v_pk_fma_f32 v[2:3], v[10:11], s[8:9], v[2:3] op_sel:[1,0,0] op_sel_hi:[0,0,1]
	v_mov_b32_e32 v6, v2
	v_mov_b32_e32 v7, v5
	;; [unrolled: 1-line block ×4, first 2 shown]
	v_pk_fma_f32 v[6:7], v[0:1], s[10:11], v[6:7] op_sel_hi:[1,0,1]
	v_pk_fma_f32 v[0:1], v[0:1], s[10:11], v[4:5] op_sel_hi:[1,0,1]
	v_pk_fma_f32 v[18:19], v[14:15], s[10:11], v[18:19] op_sel_hi:[1,0,1]
	ds_write2_b64 v22, v[0:1], v[6:7] offset0:34 offset1:51
	ds_write_b64 v22, v[18:19] offset:544
.LBB0_9:
	s_or_b64 exec, exec, s[12:13]
	v_add_u32_e32 v8, 0x1000, v136
	s_waitcnt lgkmcnt(0)
	s_barrier
	ds_read2_b64 v[0:3], v8 offset0:168 offset1:253
	v_add_u32_e32 v12, 0x1800, v136
	v_accvgpr_write_b32 a39, v8
	ds_read2_b64 v[8:11], v12 offset0:82 offset1:167
	v_add_u32_e32 v16, 0x1c00, v136
	s_waitcnt lgkmcnt(1)
	v_pk_mul_f32 v[22:23], v[124:125], v[0:1]
	v_accvgpr_write_b32 a38, v12
	v_pk_fma_f32 v[30:31], v[46:47], v[0:1], v[22:23] op_sel:[0,0,1] op_sel_hi:[1,1,0]
	v_pk_fma_f32 v[0:1], v[46:47], v[0:1], v[22:23] op_sel:[0,0,1] op_sel_hi:[1,1,0] neg_lo:[0,0,1] neg_hi:[0,0,1]
	ds_read2_b64 v[12:15], v16 offset0:124 offset1:209
	v_mov_b32_e32 v31, v1
	v_pk_mul_f32 v[0:1], v[104:105], v[2:3]
	v_add_u32_e32 v20, 0x2000, v136
	v_pk_fma_f32 v[32:33], v[120:121], v[2:3], v[0:1] op_sel:[0,0,1] op_sel_hi:[1,1,0]
	v_pk_fma_f32 v[0:1], v[120:121], v[2:3], v[0:1] op_sel:[0,0,1] op_sel_hi:[1,1,0] neg_lo:[0,0,1] neg_hi:[0,0,1]
	v_accvgpr_write_b32 a21, v16
	v_mov_b32_e32 v33, v1
	s_waitcnt lgkmcnt(1)
	v_pk_mul_f32 v[0:1], v[126:127], v[8:9]
	ds_read2_b64 v[16:19], v20 offset0:166 offset1:251
	v_pk_fma_f32 v[26:27], v[122:123], v[8:9], v[0:1] op_sel:[0,0,1] op_sel_hi:[1,1,0]
	v_pk_fma_f32 v[0:1], v[122:123], v[8:9], v[0:1] op_sel:[0,0,1] op_sel_hi:[1,1,0] neg_lo:[0,0,1] neg_hi:[0,0,1]
	v_accvgpr_write_b32 a19, v20
	v_mov_b32_e32 v27, v1
	v_pk_mul_f32 v[0:1], v[102:103], v[10:11]
	ds_read_b64 v[20:21], v136 offset:10880
	v_pk_fma_f32 v[22:23], v[116:117], v[10:11], v[0:1] op_sel:[0,0,1] op_sel_hi:[1,1,0]
	v_pk_fma_f32 v[0:1], v[116:117], v[10:11], v[0:1] op_sel:[0,0,1] op_sel_hi:[1,1,0] neg_lo:[0,0,1] neg_hi:[0,0,1]
	ds_read2_b64 v[4:7], v136 offset0:170 offset1:255
	v_mov_b32_e32 v23, v1
	s_waitcnt lgkmcnt(3)
	v_pk_mul_f32 v[0:1], v[92:93], v[12:13]
	v_accvgpr_read_b32 v38, a114
	v_pk_fma_f32 v[24:25], v[118:119], v[12:13], v[0:1] op_sel:[0,0,1] op_sel_hi:[1,1,0]
	v_pk_fma_f32 v[0:1], v[118:119], v[12:13], v[0:1] op_sel:[0,0,1] op_sel_hi:[1,1,0] neg_lo:[0,0,1] neg_hi:[0,0,1]
	v_add_u32_e32 v12, 0x800, v136
	v_mov_b32_e32 v25, v1
	v_pk_mul_f32 v[0:1], v[100:101], v[14:15]
	ds_read2_b64 v[8:11], v12 offset0:84 offset1:169
	v_pk_fma_f32 v[28:29], v[112:113], v[14:15], v[0:1] op_sel:[0,0,1] op_sel_hi:[1,1,0]
	v_pk_fma_f32 v[0:1], v[112:113], v[14:15], v[0:1] op_sel:[0,0,1] op_sel_hi:[1,1,0] neg_lo:[0,0,1] neg_hi:[0,0,1]
	v_accvgpr_read_b32 v39, a115
	v_mov_b32_e32 v29, v1
	s_waitcnt lgkmcnt(3)
	v_pk_mul_f32 v[0:1], v[62:63], v[16:17]
	v_add_u32_e32 v137, 0xc00, v136
	v_pk_fma_f32 v[34:35], v[114:115], v[16:17], v[0:1] op_sel:[0,0,1] op_sel_hi:[1,1,0]
	v_pk_fma_f32 v[0:1], v[114:115], v[16:17], v[0:1] op_sel:[0,0,1] op_sel_hi:[1,1,0] neg_lo:[0,0,1] neg_hi:[0,0,1]
	v_accvgpr_read_b32 v40, a116
	v_mov_b32_e32 v35, v1
	v_pk_mul_f32 v[0:1], v[98:99], v[18:19]
	v_accvgpr_read_b32 v41, a117
	v_pk_fma_f32 v[16:17], v[108:109], v[18:19], v[0:1] op_sel:[0,0,1] op_sel_hi:[1,1,0]
	v_pk_fma_f32 v[0:1], v[108:109], v[18:19], v[0:1] op_sel:[0,0,1] op_sel_hi:[1,1,0] neg_lo:[0,0,1] neg_hi:[0,0,1]
	v_mov_b32_e32 v92, v12
	v_mov_b32_e32 v17, v1
	s_waitcnt lgkmcnt(2)
	v_pk_mul_f32 v[0:1], v[58:59], v[20:21]
	ds_read2_b64 v[12:15], v137 offset0:126 offset1:211
	v_pk_fma_f32 v[18:19], v[110:111], v[20:21], v[0:1] op_sel:[0,0,1] op_sel_hi:[1,1,0]
	v_pk_fma_f32 v[0:1], v[110:111], v[20:21], v[0:1] op_sel:[0,0,1] op_sel_hi:[1,1,0] neg_lo:[0,0,1] neg_hi:[0,0,1]
	s_waitcnt lgkmcnt(2)
	v_pk_mul_f32 v[20:21], v[38:39], v[6:7] op_sel:[1,0]
	v_mov_b32_e32 v19, v1
	v_pk_fma_f32 v[36:37], v[38:39], v[6:7], v[20:21] op_sel:[0,0,1] op_sel_hi:[1,1,0]
	v_pk_fma_f32 v[6:7], v[38:39], v[6:7], v[20:21] op_sel:[0,0,1] op_sel_hi:[0,1,0] neg_lo:[0,0,1] neg_hi:[0,0,1]
	v_mov_b32_e32 v37, v7
	s_waitcnt lgkmcnt(1)
	v_pk_mul_f32 v[6:7], v[40:41], v[8:9] op_sel:[1,0]
	ds_read2_b64 v[0:3], v136 offset1:85
	v_pk_fma_f32 v[20:21], v[40:41], v[8:9], v[6:7] op_sel:[0,0,1] op_sel_hi:[1,1,0]
	v_pk_fma_f32 v[6:7], v[40:41], v[8:9], v[6:7] op_sel:[0,0,1] op_sel_hi:[0,1,0] neg_lo:[0,0,1] neg_hi:[0,0,1]
	v_accvgpr_read_b32 v40, a110
	v_accvgpr_read_b32 v41, a111
	v_mov_b32_e32 v21, v7
	v_pk_mul_f32 v[6:7], v[40:41], v[10:11] op_sel:[1,0]
	v_accvgpr_read_b32 v42, a112
	v_accvgpr_read_b32 v43, a113
	v_pk_fma_f32 v[38:39], v[40:41], v[10:11], v[6:7] op_sel:[0,0,1] op_sel_hi:[1,1,0]
	v_pk_fma_f32 v[6:7], v[40:41], v[10:11], v[6:7] op_sel:[0,0,1] op_sel_hi:[0,1,0] neg_lo:[0,0,1] neg_hi:[0,0,1]
	v_mov_b32_e32 v39, v7
	s_waitcnt lgkmcnt(1)
	v_pk_mul_f32 v[6:7], v[42:43], v[12:13] op_sel:[1,0]
	s_mov_b32 s18, 0xbeb8f4ab
	v_pk_fma_f32 v[40:41], v[42:43], v[12:13], v[6:7] op_sel:[0,0,1] op_sel_hi:[1,1,0]
	v_pk_fma_f32 v[6:7], v[42:43], v[12:13], v[6:7] op_sel:[0,0,1] op_sel_hi:[0,1,0] neg_lo:[0,0,1] neg_hi:[0,0,1]
	v_mov_b32_e32 v41, v7
	v_pk_mul_f32 v[6:7], v[44:45], v[14:15] op_sel:[1,0]
	v_accvgpr_read_b32 v10, a82
	v_pk_fma_f32 v[42:43], v[44:45], v[14:15], v[6:7] op_sel:[0,0,1] op_sel_hi:[1,1,0]
	v_pk_fma_f32 v[6:7], v[44:45], v[14:15], v[6:7] op_sel:[0,0,1] op_sel_hi:[0,1,0] neg_lo:[0,0,1] neg_hi:[0,0,1]
	v_accvgpr_read_b32 v11, a83
	v_mov_b32_e32 v43, v7
	s_waitcnt lgkmcnt(0)
	v_pk_mul_f32 v[6:7], v[10:11], v[2:3] op_sel:[1,0]
	v_accvgpr_read_b32 v12, a84
	v_accvgpr_read_b32 v13, a85
	v_pk_fma_f32 v[8:9], v[10:11], v[2:3], v[6:7] op_sel:[0,0,1] op_sel_hi:[1,1,0]
	v_pk_fma_f32 v[2:3], v[10:11], v[2:3], v[6:7] op_sel:[0,0,1] op_sel_hi:[0,1,0] neg_lo:[0,0,1] neg_hi:[0,0,1]
	v_mov_b32_e32 v9, v3
	v_pk_mul_f32 v[2:3], v[12:13], v[4:5] op_sel:[1,0]
	v_pk_add_f32 v[102:103], v[8:9], v[18:19] neg_lo:[0,1] neg_hi:[0,1]
	v_pk_fma_f32 v[6:7], v[12:13], v[4:5], v[2:3] op_sel:[0,0,1] op_sel_hi:[1,1,0]
	v_pk_fma_f32 v[2:3], v[12:13], v[4:5], v[2:3] op_sel:[0,0,1] op_sel_hi:[0,1,0] neg_lo:[0,0,1] neg_hi:[0,0,1]
	v_mov_b32_e32 v7, v3
	v_pk_add_f32 v[2:3], v[0:1], v[8:9]
	v_pk_add_f32 v[96:97], v[8:9], v[18:19]
	;; [unrolled: 1-line block ×3, first 2 shown]
	s_mov_b32 s12, 0x3f6eb680
	v_pk_add_f32 v[2:3], v[2:3], v[36:37]
	v_pk_mul_f32 v[4:5], v[102:103], s[18:19] op_sel_hi:[1,0]
	v_pk_add_f32 v[2:3], v[2:3], v[20:21]
	v_pk_fma_f32 v[8:9], v[96:97], s[12:13], v[4:5] op_sel:[0,0,1] op_sel_hi:[1,0,0]
	v_pk_add_f32 v[2:3], v[2:3], v[38:39]
	v_pk_fma_f32 v[194:195], v[96:97], s[12:13], v[4:5] op_sel:[0,0,1] op_sel_hi:[1,0,0] neg_lo:[0,0,1] neg_hi:[0,0,1]
	v_pk_add_f32 v[2:3], v[2:3], v[40:41]
	v_accvgpr_write_b32 a41, v9
	v_pk_add_f32 v[2:3], v[2:3], v[42:43]
	v_mov_b32_e32 v9, v195
	v_pk_add_f32 v[2:3], v[2:3], v[30:31]
	v_pk_add_f32 v[106:107], v[6:7], v[16:17] neg_lo:[0,1] neg_hi:[0,1]
	v_pk_add_f32 v[2:3], v[2:3], v[32:33]
	s_mov_b32 s30, 0xbf2c7751
	v_pk_add_f32 v[2:3], v[2:3], v[26:27]
	v_pk_add_f32 v[10:11], v[0:1], v[8:9]
	;; [unrolled: 1-line block ×4, first 2 shown]
	s_mov_b32 s0, 0x3f3d2fb0
	v_pk_mul_f32 v[8:9], v[106:107], s[30:31] op_sel_hi:[1,0]
	v_pk_add_f32 v[2:3], v[2:3], v[24:25]
	v_pk_fma_f32 v[12:13], v[104:105], s[0:1], v[8:9] op_sel:[0,0,1] op_sel_hi:[1,0,0]
	v_pk_fma_f32 v[172:173], v[104:105], s[0:1], v[8:9] op_sel:[0,0,1] op_sel_hi:[1,0,0] neg_lo:[0,0,1] neg_hi:[0,0,1]
	v_pk_add_f32 v[2:3], v[2:3], v[28:29]
	v_accvgpr_write_b32 a43, v13
	v_mov_b32_e32 v13, v173
	v_pk_add_f32 v[110:111], v[36:37], v[34:35] neg_lo:[0,1] neg_hi:[0,1]
	s_mov_b32 s42, 0xbf65296c
	v_pk_add_f32 v[2:3], v[2:3], v[34:35]
	v_pk_add_f32 v[14:15], v[12:13], v[10:11]
	;; [unrolled: 1-line block ×3, first 2 shown]
	s_mov_b32 s8, 0x3ee437d1
	v_pk_mul_f32 v[12:13], v[110:111], s[42:43] op_sel_hi:[1,0]
	v_pk_add_f32 v[2:3], v[2:3], v[16:17]
	v_pk_fma_f32 v[16:17], v[108:109], s[8:9], v[12:13] op_sel:[0,0,1] op_sel_hi:[1,0,0]
	v_pk_fma_f32 v[144:145], v[108:109], s[8:9], v[12:13] op_sel:[0,0,1] op_sel_hi:[1,0,0] neg_lo:[0,0,1] neg_hi:[0,0,1]
	v_accvgpr_write_b32 a45, v17
	v_mov_b32_e32 v17, v145
	v_pk_add_f32 v[114:115], v[20:21], v[28:29] neg_lo:[0,1] neg_hi:[0,1]
	s_mov_b32 s28, 0xbf7ee86f
	v_pk_add_f32 v[44:45], v[2:3], v[18:19]
	v_pk_add_f32 v[18:19], v[16:17], v[14:15]
	;; [unrolled: 1-line block ×3, first 2 shown]
	s_mov_b32 s10, 0x3dbcf732
	v_pk_mul_f32 v[16:17], v[114:115], s[28:29] op_sel_hi:[1,0]
	v_pk_add_f32 v[118:119], v[38:39], v[24:25] neg_lo:[0,1] neg_hi:[0,1]
	v_pk_fma_f32 v[20:21], v[112:113], s[10:11], v[16:17] op_sel:[0,0,1] op_sel_hi:[1,0,0]
	v_pk_fma_f32 v[16:17], v[112:113], s[10:11], v[16:17] op_sel:[0,0,1] op_sel_hi:[1,0,0] neg_lo:[0,0,1] neg_hi:[0,0,1]
	v_accvgpr_write_b32 a47, v21
	v_mov_b32_e32 v21, v17
	s_mov_b32 s16, 0xbf763a35
	v_pk_add_f32 v[28:29], v[20:21], v[18:19]
	v_pk_add_f32 v[116:117], v[38:39], v[24:25]
	s_mov_b32 s14, 0xbe8c1d8e
	v_pk_mul_f32 v[20:21], v[118:119], s[16:17] op_sel_hi:[1,0]
	v_pk_add_f32 v[122:123], v[40:41], v[22:23] neg_lo:[0,1] neg_hi:[0,1]
	v_pk_fma_f32 v[24:25], v[116:117], s[14:15], v[20:21] op_sel:[0,0,1] op_sel_hi:[1,0,0]
	v_pk_fma_f32 v[20:21], v[116:117], s[14:15], v[20:21] op_sel:[0,0,1] op_sel_hi:[1,0,0] neg_lo:[0,0,1] neg_hi:[0,0,1]
	v_accvgpr_write_b32 a49, v25
	v_mov_b32_e32 v25, v21
	s_mov_b32 s22, 0xbf4c4adb
	v_pk_add_f32 v[28:29], v[24:25], v[28:29]
	v_pk_add_f32 v[120:121], v[40:41], v[22:23]
	s_mov_b32 s20, 0xbf1a4643
	v_pk_mul_f32 v[24:25], v[122:123], s[22:23] op_sel_hi:[1,0]
	v_pk_add_f32 v[126:127], v[42:43], v[26:27] neg_lo:[0,1] neg_hi:[0,1]
	v_pk_fma_f32 v[22:23], v[120:121], s[20:21], v[24:25] op_sel:[0,0,1] op_sel_hi:[1,0,0]
	v_pk_fma_f32 v[24:25], v[120:121], s[20:21], v[24:25] op_sel:[0,0,1] op_sel_hi:[1,0,0] neg_lo:[0,0,1] neg_hi:[0,0,1]
	v_mov_b32_e32 v34, v22
	v_mov_b32_e32 v35, v25
	s_mov_b32 s26, 0xbf06c442
	v_pk_add_f32 v[34:35], v[34:35], v[28:29]
	v_pk_add_f32 v[124:125], v[42:43], v[26:27]
	s_mov_b32 s24, 0xbf59a7d5
	v_pk_mul_f32 v[28:29], v[126:127], s[26:27] op_sel_hi:[1,0]
	v_pk_add_f32 v[130:131], v[30:31], v[32:33] neg_lo:[0,1] neg_hi:[0,1]
	s_mov_b32 s36, 0xbe3c28d5
	v_pk_fma_f32 v[26:27], v[124:125], s[24:25], v[28:29] op_sel:[0,0,1] op_sel_hi:[1,0,0]
	v_pk_fma_f32 v[28:29], v[124:125], s[24:25], v[28:29] op_sel:[0,0,1] op_sel_hi:[1,0,0] neg_lo:[0,0,1] neg_hi:[0,0,1]
	v_pk_add_f32 v[128:129], v[30:31], v[32:33]
	s_mov_b32 s34, 0xbf7ba420
	v_pk_mul_f32 v[32:33], v[130:131], s[36:37] op_sel_hi:[1,0]
	v_mov_b32_e32 v36, v26
	v_mov_b32_e32 v37, v29
	v_pk_fma_f32 v[30:31], v[128:129], s[34:35], v[32:33] op_sel:[0,0,1] op_sel_hi:[1,0,0]
	v_pk_fma_f32 v[32:33], v[128:129], s[34:35], v[32:33] op_sel:[0,0,1] op_sel_hi:[1,0,0] neg_lo:[0,0,1] neg_hi:[0,0,1]
	v_pk_add_f32 v[34:35], v[36:37], v[34:35]
	v_mov_b32_e32 v36, v30
	v_mov_b32_e32 v37, v33
	v_pk_add_f32 v[34:35], v[36:37], v[34:35]
	v_pk_mul_f32 v[36:37], v[102:103], s[30:31] op_sel_hi:[1,0]
	ds_write2_b64 v136, v[44:45], v[34:35] offset1:85
	v_pk_fma_f32 v[34:35], v[96:97], s[0:1], v[36:37] op_sel:[0,0,1] op_sel_hi:[1,0,0]
	v_pk_fma_f32 v[36:37], v[96:97], s[0:1], v[36:37] op_sel:[0,0,1] op_sel_hi:[1,0,0] neg_lo:[0,0,1] neg_hi:[0,0,1]
	v_mov_b32_e32 v38, v34
	v_mov_b32_e32 v39, v37
	v_pk_mul_f32 v[40:41], v[106:107], s[28:29] op_sel_hi:[1,0]
	v_pk_add_f32 v[42:43], v[0:1], v[38:39]
	v_pk_fma_f32 v[38:39], v[104:105], s[10:11], v[40:41] op_sel:[0,0,1] op_sel_hi:[1,0,0]
	v_pk_fma_f32 v[40:41], v[104:105], s[10:11], v[40:41] op_sel:[0,0,1] op_sel_hi:[1,0,0] neg_lo:[0,0,1] neg_hi:[0,0,1]
	v_mov_b32_e32 v44, v38
	v_mov_b32_e32 v45, v41
	v_pk_add_f32 v[46:47], v[44:45], v[42:43]
	v_pk_mul_f32 v[44:45], v[110:111], s[22:23] op_sel_hi:[1,0]
	s_mov_b32 s48, 0x3f06c442
	v_pk_fma_f32 v[42:43], v[108:109], s[20:21], v[44:45] op_sel:[0,0,1] op_sel_hi:[1,0,0]
	v_pk_fma_f32 v[44:45], v[108:109], s[20:21], v[44:45] op_sel:[0,0,1] op_sel_hi:[1,0,0] neg_lo:[0,0,1] neg_hi:[0,0,1]
	v_mov_b32_e32 v48, v42
	v_mov_b32_e32 v49, v45
	v_pk_add_f32 v[50:51], v[48:49], v[46:47]
	v_pk_mul_f32 v[48:49], v[114:115], s[36:37] op_sel_hi:[1,0]
	s_mov_b32 s46, 0x3f763a35
	;; [unrolled: 7-line block ×4, first 2 shown]
	v_pk_fma_f32 v[54:55], v[120:121], s[14:15], v[56:57] op_sel:[0,0,1] op_sel_hi:[1,0,0]
	v_pk_fma_f32 v[56:57], v[120:121], s[14:15], v[56:57] op_sel:[0,0,1] op_sel_hi:[1,0,0] neg_lo:[0,0,1] neg_hi:[0,0,1]
	v_mov_b32_e32 v60, v54
	v_mov_b32_e32 v61, v57
	v_pk_add_f32 v[62:63], v[60:61], v[58:59]
	v_pk_mul_f32 v[60:61], v[126:127], s[38:39] op_sel_hi:[1,0]
	v_pk_mul_f32 v[72:73], v[106:107], s[22:23] op_sel_hi:[1,0]
	v_pk_fma_f32 v[58:59], v[124:125], s[8:9], v[60:61] op_sel:[0,0,1] op_sel_hi:[1,0,0]
	v_pk_fma_f32 v[60:61], v[124:125], s[8:9], v[60:61] op_sel:[0,0,1] op_sel_hi:[1,0,0] neg_lo:[0,0,1] neg_hi:[0,0,1]
	v_mov_b32_e32 v64, v58
	v_mov_b32_e32 v65, v61
	v_pk_add_f32 v[66:67], v[64:65], v[62:63]
	v_pk_mul_f32 v[64:65], v[130:131], s[40:41] op_sel_hi:[1,0]
	s_mov_b32 s44, 0x3e3c28d5
	v_pk_fma_f32 v[62:63], v[128:129], s[12:13], v[64:65] op_sel:[0,0,1] op_sel_hi:[1,0,0]
	v_pk_fma_f32 v[64:65], v[128:129], s[12:13], v[64:65] op_sel:[0,0,1] op_sel_hi:[1,0,0] neg_lo:[0,0,1] neg_hi:[0,0,1]
	v_mov_b32_e32 v68, v62
	v_mov_b32_e32 v69, v65
	v_pk_add_f32 v[132:133], v[68:69], v[66:67]
	v_pk_mul_f32 v[68:69], v[102:103], s[42:43] op_sel_hi:[1,0]
	s_mov_b32 s50, 0x3f4c4adb
	v_pk_fma_f32 v[66:67], v[96:97], s[8:9], v[68:69] op_sel:[0,0,1] op_sel_hi:[1,0,0]
	v_pk_fma_f32 v[68:69], v[96:97], s[8:9], v[68:69] op_sel:[0,0,1] op_sel_hi:[1,0,0] neg_lo:[0,0,1] neg_hi:[0,0,1]
	v_mov_b32_e32 v70, v66
	v_mov_b32_e32 v71, v69
	v_pk_add_f32 v[74:75], v[0:1], v[70:71]
	v_pk_fma_f32 v[70:71], v[104:105], s[20:21], v[72:73] op_sel:[0,0,1] op_sel_hi:[1,0,0]
	v_pk_fma_f32 v[72:73], v[104:105], s[20:21], v[72:73] op_sel:[0,0,1] op_sel_hi:[1,0,0] neg_lo:[0,0,1] neg_hi:[0,0,1]
	v_mov_b32_e32 v76, v70
	v_mov_b32_e32 v77, v73
	v_pk_add_f32 v[78:79], v[76:77], v[74:75]
	v_pk_mul_f32 v[76:77], v[110:111], s[44:45] op_sel_hi:[1,0]
	s_mov_b32 s44, 0x3f2c7751
	v_pk_fma_f32 v[74:75], v[108:109], s[34:35], v[76:77] op_sel:[0,0,1] op_sel_hi:[1,0,0]
	v_pk_fma_f32 v[76:77], v[108:109], s[34:35], v[76:77] op_sel:[0,0,1] op_sel_hi:[1,0,0] neg_lo:[0,0,1] neg_hi:[0,0,1]
	v_mov_b32_e32 v80, v74
	v_mov_b32_e32 v81, v77
	v_pk_add_f32 v[82:83], v[80:81], v[78:79]
	v_pk_mul_f32 v[80:81], v[114:115], s[46:47] op_sel_hi:[1,0]
	v_pk_mul_f32 v[170:171], v[106:107], s[48:49] op_sel_hi:[1,0]
	v_pk_fma_f32 v[78:79], v[112:113], s[14:15], v[80:81] op_sel:[0,0,1] op_sel_hi:[1,0,0]
	v_pk_fma_f32 v[80:81], v[112:113], s[14:15], v[80:81] op_sel:[0,0,1] op_sel_hi:[1,0,0] neg_lo:[0,0,1] neg_hi:[0,0,1]
	v_mov_b32_e32 v84, v78
	v_mov_b32_e32 v85, v81
	v_pk_add_f32 v[86:87], v[84:85], v[82:83]
	v_pk_mul_f32 v[84:85], v[118:119], s[44:45] op_sel_hi:[1,0]
	v_pk_mul_f32 v[208:209], v[106:107], s[46:47] op_sel_hi:[1,0]
	v_pk_fma_f32 v[82:83], v[116:117], s[0:1], v[84:85] op_sel:[0,0,1] op_sel_hi:[1,0,0]
	v_pk_fma_f32 v[84:85], v[116:117], s[0:1], v[84:85] op_sel:[0,0,1] op_sel_hi:[1,0,0] neg_lo:[0,0,1] neg_hi:[0,0,1]
	v_mov_b32_e32 v88, v82
	v_mov_b32_e32 v89, v85
	v_pk_add_f32 v[90:91], v[88:89], v[86:87]
	v_pk_mul_f32 v[88:89], v[122:123], s[18:19] op_sel_hi:[1,0]
	v_pk_fma_f32 v[210:211], v[104:105], s[14:15], v[208:209] op_sel:[0,0,1] op_sel_hi:[1,0,0]
	v_pk_fma_f32 v[86:87], v[120:121], s[12:13], v[88:89] op_sel:[0,0,1] op_sel_hi:[1,0,0]
	v_pk_fma_f32 v[88:89], v[120:121], s[12:13], v[88:89] op_sel:[0,0,1] op_sel_hi:[1,0,0] neg_lo:[0,0,1] neg_hi:[0,0,1]
	v_mov_b32_e32 v94, v86
	v_mov_b32_e32 v95, v89
	v_pk_add_f32 v[98:99], v[94:95], v[90:91]
	v_pk_mul_f32 v[94:95], v[126:127], s[28:29] op_sel_hi:[1,0]
	v_pk_fma_f32 v[208:209], v[104:105], s[14:15], v[208:209] op_sel:[0,0,1] op_sel_hi:[1,0,0] neg_lo:[0,0,1] neg_hi:[0,0,1]
	v_pk_fma_f32 v[90:91], v[124:125], s[10:11], v[94:95] op_sel:[0,0,1] op_sel_hi:[1,0,0]
	v_pk_fma_f32 v[94:95], v[124:125], s[10:11], v[94:95] op_sel:[0,0,1] op_sel_hi:[1,0,0] neg_lo:[0,0,1] neg_hi:[0,0,1]
	v_mov_b32_e32 v100, v90
	v_mov_b32_e32 v101, v95
	v_pk_add_f32 v[134:135], v[100:101], v[98:99]
	v_pk_mul_f32 v[100:101], v[130:131], s[26:27] op_sel_hi:[1,0]
	v_mov_b32_e32 v212, v210
	v_pk_fma_f32 v[98:99], v[128:129], s[24:25], v[100:101] op_sel:[0,0,1] op_sel_hi:[1,0,0]
	v_pk_fma_f32 v[100:101], v[128:129], s[24:25], v[100:101] op_sel:[0,0,1] op_sel_hi:[1,0,0] neg_lo:[0,0,1] neg_hi:[0,0,1]
	v_mov_b32_e32 v138, v98
	v_mov_b32_e32 v139, v101
	v_pk_add_f32 v[134:135], v[138:139], v[134:135]
	ds_write2_b64 v136, v[132:133], v[134:135] offset0:170 offset1:255
	v_pk_mul_f32 v[132:133], v[102:103], s[28:29] op_sel_hi:[1,0]
	v_pk_mul_f32 v[138:139], v[106:107], s[36:37] op_sel_hi:[1,0]
	v_pk_fma_f32 v[18:19], v[96:97], s[10:11], v[132:133] op_sel:[0,0,1] op_sel_hi:[1,0,0]
	v_pk_fma_f32 v[134:135], v[96:97], s[10:11], v[132:133] op_sel:[0,0,1] op_sel_hi:[1,0,0] neg_lo:[0,0,1] neg_hi:[0,0,1]
	v_mov_b32_e32 v132, v18
	v_mov_b32_e32 v133, v135
	v_pk_add_f32 v[140:141], v[0:1], v[132:133]
	v_pk_fma_f32 v[132:133], v[104:105], s[34:35], v[138:139] op_sel:[0,0,1] op_sel_hi:[1,0,0]
	v_pk_fma_f32 v[138:139], v[104:105], s[34:35], v[138:139] op_sel:[0,0,1] op_sel_hi:[1,0,0] neg_lo:[0,0,1] neg_hi:[0,0,1]
	v_mov_b32_e32 v142, v132
	v_mov_b32_e32 v143, v139
	v_pk_add_f32 v[146:147], v[142:143], v[140:141]
	v_pk_mul_f32 v[142:143], v[110:111], s[46:47] op_sel_hi:[1,0]
	v_mov_b32_e32 v213, v209
	v_pk_fma_f32 v[140:141], v[108:109], s[14:15], v[142:143] op_sel:[0,0,1] op_sel_hi:[1,0,0]
	v_pk_fma_f32 v[142:143], v[108:109], s[14:15], v[142:143] op_sel:[0,0,1] op_sel_hi:[1,0,0] neg_lo:[0,0,1] neg_hi:[0,0,1]
	v_mov_b32_e32 v148, v140
	v_mov_b32_e32 v149, v143
	v_pk_add_f32 v[148:149], v[148:149], v[146:147]
	v_pk_mul_f32 v[146:147], v[114:115], s[40:41] op_sel_hi:[1,0]
	v_pk_mul_f32 v[242:243], v[106:107], s[38:39] op_sel_hi:[1,0]
	v_pk_fma_f32 v[198:199], v[112:113], s[12:13], v[146:147] op_sel:[0,0,1] op_sel_hi:[1,0,0]
	v_pk_fma_f32 v[146:147], v[112:113], s[12:13], v[146:147] op_sel:[0,0,1] op_sel_hi:[1,0,0] neg_lo:[0,0,1] neg_hi:[0,0,1]
	v_mov_b32_e32 v150, v198
	v_mov_b32_e32 v151, v147
	v_pk_add_f32 v[152:153], v[150:151], v[148:149]
	v_pk_mul_f32 v[150:151], v[118:119], s[42:43] op_sel_hi:[1,0]
	v_pk_fma_f32 v[244:245], v[104:105], s[8:9], v[242:243] op_sel:[0,0,1] op_sel_hi:[1,0,0]
	v_pk_fma_f32 v[148:149], v[116:117], s[8:9], v[150:151] op_sel:[0,0,1] op_sel_hi:[1,0,0]
	v_pk_fma_f32 v[150:151], v[116:117], s[8:9], v[150:151] op_sel:[0,0,1] op_sel_hi:[1,0,0] neg_lo:[0,0,1] neg_hi:[0,0,1]
	v_mov_b32_e32 v154, v148
	v_mov_b32_e32 v155, v151
	v_pk_add_f32 v[156:157], v[154:155], v[152:153]
	v_pk_mul_f32 v[154:155], v[122:123], s[26:27] op_sel_hi:[1,0]
	v_pk_fma_f32 v[242:243], v[104:105], s[8:9], v[242:243] op_sel:[0,0,1] op_sel_hi:[1,0,0] neg_lo:[0,0,1] neg_hi:[0,0,1]
	v_pk_fma_f32 v[152:153], v[120:121], s[24:25], v[154:155] op_sel:[0,0,1] op_sel_hi:[1,0,0]
	v_pk_fma_f32 v[154:155], v[120:121], s[24:25], v[154:155] op_sel:[0,0,1] op_sel_hi:[1,0,0] neg_lo:[0,0,1] neg_hi:[0,0,1]
	v_mov_b32_e32 v158, v152
	v_mov_b32_e32 v159, v155
	v_pk_add_f32 v[160:161], v[158:159], v[156:157]
	v_pk_mul_f32 v[158:159], v[126:127], s[50:51] op_sel_hi:[1,0]
	v_mov_b32_e32 v246, v244
	v_pk_fma_f32 v[156:157], v[124:125], s[20:21], v[158:159] op_sel:[0,0,1] op_sel_hi:[1,0,0]
	v_pk_fma_f32 v[158:159], v[124:125], s[20:21], v[158:159] op_sel:[0,0,1] op_sel_hi:[1,0,0] neg_lo:[0,0,1] neg_hi:[0,0,1]
	v_mov_b32_e32 v162, v156
	v_mov_b32_e32 v163, v159
	v_pk_add_f32 v[164:165], v[162:163], v[160:161]
	v_pk_mul_f32 v[162:163], v[130:131], s[44:45] op_sel_hi:[1,0]
	v_mov_b32_e32 v247, v243
	v_pk_fma_f32 v[160:161], v[128:129], s[0:1], v[162:163] op_sel:[0,0,1] op_sel_hi:[1,0,0]
	v_pk_fma_f32 v[162:163], v[128:129], s[0:1], v[162:163] op_sel:[0,0,1] op_sel_hi:[1,0,0] neg_lo:[0,0,1] neg_hi:[0,0,1]
	v_mov_b32_e32 v166, v160
	v_mov_b32_e32 v167, v163
	v_pk_add_f32 v[196:197], v[166:167], v[164:165]
	v_pk_mul_f32 v[166:167], v[102:103], s[16:17] op_sel_hi:[1,0]
	v_mov_b32_e32 v22, v92
	v_pk_fma_f32 v[164:165], v[96:97], s[14:15], v[166:167] op_sel:[0,0,1] op_sel_hi:[1,0,0]
	v_pk_fma_f32 v[166:167], v[96:97], s[14:15], v[166:167] op_sel:[0,0,1] op_sel_hi:[1,0,0] neg_lo:[0,0,1] neg_hi:[0,0,1]
	v_mov_b32_e32 v168, v164
	v_mov_b32_e32 v169, v167
	v_pk_add_f32 v[174:175], v[0:1], v[168:169]
	v_pk_fma_f32 v[168:169], v[104:105], s[24:25], v[170:171] op_sel:[0,0,1] op_sel_hi:[1,0,0]
	v_pk_fma_f32 v[170:171], v[104:105], s[24:25], v[170:171] op_sel:[0,0,1] op_sel_hi:[1,0,0] neg_lo:[0,0,1] neg_hi:[0,0,1]
	v_mov_b32_e32 v176, v168
	v_mov_b32_e32 v177, v171
	v_pk_add_f32 v[176:177], v[176:177], v[174:175]
	v_pk_mul_f32 v[174:175], v[110:111], s[44:45] op_sel_hi:[1,0]
	v_accvgpr_read_b32 v18, a39
	v_pk_fma_f32 v[192:193], v[108:109], s[0:1], v[174:175] op_sel:[0,0,1] op_sel_hi:[1,0,0]
	v_pk_fma_f32 v[174:175], v[108:109], s[0:1], v[174:175] op_sel:[0,0,1] op_sel_hi:[1,0,0] neg_lo:[0,0,1] neg_hi:[0,0,1]
	v_mov_b32_e32 v178, v192
	v_mov_b32_e32 v179, v175
	v_pk_add_f32 v[180:181], v[178:179], v[176:177]
	v_pk_mul_f32 v[178:179], v[114:115], s[42:43] op_sel_hi:[1,0]
	s_mov_b32 s42, 0x3f7ee86f
	v_pk_fma_f32 v[176:177], v[112:113], s[8:9], v[178:179] op_sel:[0,0,1] op_sel_hi:[1,0,0]
	v_pk_fma_f32 v[178:179], v[112:113], s[8:9], v[178:179] op_sel:[0,0,1] op_sel_hi:[1,0,0] neg_lo:[0,0,1] neg_hi:[0,0,1]
	v_mov_b32_e32 v182, v176
	v_mov_b32_e32 v183, v179
	v_pk_add_f32 v[184:185], v[182:183], v[180:181]
	v_pk_mul_f32 v[182:183], v[118:119], s[36:37] op_sel_hi:[1,0]
	v_mov_b32_e32 v243, v245
	v_pk_fma_f32 v[180:181], v[116:117], s[34:35], v[182:183] op_sel:[0,0,1] op_sel_hi:[1,0,0]
	v_pk_fma_f32 v[182:183], v[116:117], s[34:35], v[182:183] op_sel:[0,0,1] op_sel_hi:[1,0,0] neg_lo:[0,0,1] neg_hi:[0,0,1]
	v_mov_b32_e32 v186, v180
	v_mov_b32_e32 v187, v183
	v_pk_add_f32 v[188:189], v[186:187], v[184:185]
	v_pk_mul_f32 v[186:187], v[122:123], s[42:43] op_sel_hi:[1,0]
	v_mov_b32_e32 v209, v211
	;; [unrolled: 7-line block ×4, first 2 shown]
	v_pk_fma_f32 v[204:205], v[128:129], s[20:21], v[202:203] op_sel:[0,0,1] op_sel_hi:[1,0,0]
	v_pk_fma_f32 v[202:203], v[128:129], s[20:21], v[202:203] op_sel:[0,0,1] op_sel_hi:[1,0,0] neg_lo:[0,0,1] neg_hi:[0,0,1]
	v_mov_b32_e32 v206, v204
	v_mov_b32_e32 v207, v203
	v_pk_add_f32 v[200:201], v[206:207], v[200:201]
	ds_write2_b64 v92, v[196:197], v[200:201] offset0:84 offset1:169
	v_pk_mul_f32 v[196:197], v[102:103], s[22:23] op_sel_hi:[1,0]
	v_mov_b32_e32 v171, v169
	v_pk_fma_f32 v[200:201], v[96:97], s[20:21], v[196:197] op_sel:[0,0,1] op_sel_hi:[1,0,0]
	v_pk_fma_f32 v[196:197], v[96:97], s[20:21], v[196:197] op_sel:[0,0,1] op_sel_hi:[1,0,0] neg_lo:[0,0,1] neg_hi:[0,0,1]
	v_mov_b32_e32 v206, v200
	v_mov_b32_e32 v207, v197
	v_pk_add_f32 v[206:207], v[0:1], v[206:207]
	v_mov_b32_e32 v197, v201
	v_pk_add_f32 v[206:207], v[212:213], v[206:207]
	v_pk_mul_f32 v[212:213], v[110:111], s[18:19] op_sel_hi:[1,0]
	v_mov_b32_e32 v139, v133
	v_pk_fma_f32 v[214:215], v[108:109], s[12:13], v[212:213] op_sel:[0,0,1] op_sel_hi:[1,0,0]
	v_pk_fma_f32 v[212:213], v[108:109], s[12:13], v[212:213] op_sel:[0,0,1] op_sel_hi:[1,0,0] neg_lo:[0,0,1] neg_hi:[0,0,1]
	v_mov_b32_e32 v216, v214
	v_mov_b32_e32 v217, v213
	v_pk_add_f32 v[206:207], v[216:217], v[206:207]
	v_pk_mul_f32 v[216:217], v[114:115], s[26:27] op_sel_hi:[1,0]
	v_mov_b32_e32 v213, v215
	v_pk_fma_f32 v[218:219], v[112:113], s[24:25], v[216:217] op_sel:[0,0,1] op_sel_hi:[1,0,0]
	v_pk_fma_f32 v[216:217], v[112:113], s[24:25], v[216:217] op_sel:[0,0,1] op_sel_hi:[1,0,0] neg_lo:[0,0,1] neg_hi:[0,0,1]
	v_mov_b32_e32 v220, v218
	;; [unrolled: 7-line block ×7, first 2 shown]
	v_mov_b32_e32 v241, v237
	v_pk_add_f32 v[240:241], v[0:1], v[240:241]
	v_mov_b32_e32 v237, v239
	v_pk_add_f32 v[240:241], v[246:247], v[240:241]
	v_pk_mul_f32 v[246:247], v[110:111], s[28:29] op_sel_hi:[1,0]
	v_mov_b32_e32 v175, v193
	v_pk_fma_f32 v[248:249], v[108:109], s[10:11], v[246:247] op_sel:[0,0,1] op_sel_hi:[1,0,0]
	v_pk_fma_f32 v[246:247], v[108:109], s[10:11], v[246:247] op_sel:[0,0,1] op_sel_hi:[1,0,0] neg_lo:[0,0,1] neg_hi:[0,0,1]
	v_mov_b32_e32 v250, v248
	v_mov_b32_e32 v251, v247
	v_pk_add_f32 v[240:241], v[250:251], v[240:241]
	v_pk_mul_f32 v[250:251], v[114:115], s[50:51] op_sel_hi:[1,0]
	v_mov_b32_e32 v247, v249
	v_pk_fma_f32 v[252:253], v[112:113], s[20:21], v[250:251] op_sel:[0,0,1] op_sel_hi:[1,0,0]
	v_pk_fma_f32 v[250:251], v[112:113], s[20:21], v[250:251] op_sel:[0,0,1] op_sel_hi:[1,0,0] neg_lo:[0,0,1] neg_hi:[0,0,1]
	v_mov_b32_e32 v254, v252
	v_mov_b32_e32 v255, v251
	v_pk_add_f32 v[240:241], v[254:255], v[240:241]
	v_pk_mul_f32 v[254:255], v[118:119], s[18:19] op_sel_hi:[1,0]
	v_mov_b32_e32 v251, v253
	v_pk_fma_f32 v[14:15], v[116:117], s[12:13], v[254:255] op_sel:[0,0,1] op_sel_hi:[1,0,0]
	v_pk_fma_f32 v[254:255], v[116:117], s[12:13], v[254:255] op_sel:[0,0,1] op_sel_hi:[1,0,0] neg_lo:[0,0,1] neg_hi:[0,0,1]
	v_mov_b32_e32 v92, v14
	v_mov_b32_e32 v93, v255
	v_pk_add_f32 v[92:93], v[92:93], v[240:241]
	v_pk_mul_f32 v[240:241], v[122:123], s[36:37] op_sel_hi:[1,0]
	v_mov_b32_e32 v255, v15
	v_pk_fma_f32 v[12:13], v[120:121], s[34:35], v[240:241] op_sel:[0,0,1] op_sel_hi:[1,0,0]
	v_pk_fma_f32 v[240:241], v[120:121], s[34:35], v[240:241] op_sel:[0,0,1] op_sel_hi:[1,0,0] neg_lo:[0,0,1] neg_hi:[0,0,1]
	v_mov_b32_e32 v2, v12
	v_mov_b32_e32 v3, v241
	v_pk_add_f32 v[2:3], v[2:3], v[92:93]
	v_pk_mul_f32 v[92:93], v[126:127], s[44:45] op_sel_hi:[1,0]
	v_mov_b32_e32 v241, v13
	v_pk_fma_f32 v[6:7], v[124:125], s[0:1], v[92:93] op_sel:[0,0,1] op_sel_hi:[1,0,0]
	v_pk_fma_f32 v[92:93], v[124:125], s[0:1], v[92:93] op_sel:[0,0,1] op_sel_hi:[1,0,0] neg_lo:[0,0,1] neg_hi:[0,0,1]
	v_mov_b32_e32 v4, v6
	v_mov_b32_e32 v5, v93
	v_pk_add_f32 v[2:3], v[4:5], v[2:3]
	v_pk_mul_f32 v[4:5], v[130:131], s[16:17] op_sel_hi:[1,0]
	v_mov_b32_e32 v93, v7
	v_pk_fma_f32 v[10:11], v[128:129], s[14:15], v[4:5] op_sel:[0,0,1] op_sel_hi:[1,0,0]
	v_pk_fma_f32 v[4:5], v[128:129], s[14:15], v[4:5] op_sel:[0,0,1] op_sel_hi:[1,0,0] neg_lo:[0,0,1] neg_hi:[0,0,1]
	v_mov_b32_e32 v8, v10
	v_mov_b32_e32 v9, v5
	v_pk_add_f32 v[2:3], v[8:9], v[2:3]
	ds_write2_b64 v137, v[206:207], v[2:3] offset0:126 offset1:211
	v_pk_mul_f32 v[2:3], v[102:103], s[36:37] op_sel_hi:[1,0]
	v_mov_b32_e32 v5, v11
	v_pk_fma_f32 v[8:9], v[96:97], s[34:35], v[2:3] op_sel:[0,0,1] op_sel_hi:[1,0,0]
	v_pk_fma_f32 v[2:3], v[96:97], s[34:35], v[2:3] op_sel:[0,0,1] op_sel_hi:[1,0,0] neg_lo:[0,0,1] neg_hi:[0,0,1]
	v_pk_mul_f32 v[96:97], v[106:107], s[40:41] op_sel_hi:[1,0]
	v_accvgpr_read_b32 v15, a38
	v_pk_fma_f32 v[102:103], v[104:105], s[12:13], v[96:97] op_sel:[0,0,1] op_sel_hi:[1,0,0]
	v_pk_fma_f32 v[96:97], v[104:105], s[12:13], v[96:97] op_sel:[0,0,1] op_sel_hi:[1,0,0] neg_lo:[0,0,1] neg_hi:[0,0,1]
	v_mov_b32_e32 v104, v8
	v_mov_b32_e32 v105, v3
	v_pk_add_f32 v[104:105], v[0:1], v[104:105]
	v_mov_b32_e32 v106, v102
	v_mov_b32_e32 v107, v97
	v_pk_add_f32 v[104:105], v[106:107], v[104:105]
	v_pk_mul_f32 v[106:107], v[110:111], s[26:27] op_sel_hi:[1,0]
	v_mov_b32_e32 v3, v9
	v_pk_fma_f32 v[110:111], v[108:109], s[24:25], v[106:107] op_sel:[0,0,1] op_sel_hi:[1,0,0]
	v_pk_fma_f32 v[106:107], v[108:109], s[24:25], v[106:107] op_sel:[0,0,1] op_sel_hi:[1,0,0] neg_lo:[0,0,1] neg_hi:[0,0,1]
	v_mov_b32_e32 v108, v110
	v_mov_b32_e32 v109, v107
	v_pk_add_f32 v[104:105], v[108:109], v[104:105]
	v_pk_mul_f32 v[108:109], v[114:115], s[44:45] op_sel_hi:[1,0]
	v_mov_b32_e32 v97, v103
	v_pk_fma_f32 v[114:115], v[112:113], s[0:1], v[108:109] op_sel:[0,0,1] op_sel_hi:[1,0,0]
	v_pk_fma_f32 v[108:109], v[112:113], s[0:1], v[108:109] op_sel:[0,0,1] op_sel_hi:[1,0,0] neg_lo:[0,0,1] neg_hi:[0,0,1]
	v_mov_b32_e32 v112, v114
	v_mov_b32_e32 v113, v109
	v_pk_add_f32 v[104:105], v[112:113], v[104:105]
	v_pk_mul_f32 v[112:113], v[118:119], s[22:23] op_sel_hi:[1,0]
	v_pk_add_f32 v[2:3], v[0:1], v[2:3]
	v_pk_fma_f32 v[118:119], v[116:117], s[20:21], v[112:113] op_sel:[0,0,1] op_sel_hi:[1,0,0]
	v_pk_fma_f32 v[112:113], v[116:117], s[20:21], v[112:113] op_sel:[0,0,1] op_sel_hi:[1,0,0] neg_lo:[0,0,1] neg_hi:[0,0,1]
	v_mov_b32_e32 v116, v118
	v_mov_b32_e32 v117, v113
	v_pk_add_f32 v[104:105], v[116:117], v[104:105]
	v_pk_mul_f32 v[116:117], v[122:123], s[38:39] op_sel_hi:[1,0]
	v_pk_add_f32 v[2:3], v[96:97], v[2:3]
	v_pk_fma_f32 v[122:123], v[120:121], s[8:9], v[116:117] op_sel:[0,0,1] op_sel_hi:[1,0,0]
	v_pk_fma_f32 v[116:117], v[120:121], s[8:9], v[116:117] op_sel:[0,0,1] op_sel_hi:[1,0,0] neg_lo:[0,0,1] neg_hi:[0,0,1]
	v_mov_b32_e32 v120, v122
	v_mov_b32_e32 v121, v117
	v_pk_add_f32 v[104:105], v[120:121], v[104:105]
	v_pk_mul_f32 v[120:121], v[126:127], s[16:17] op_sel_hi:[1,0]
	v_mov_b32_e32 v107, v111
	v_pk_fma_f32 v[126:127], v[124:125], s[14:15], v[120:121] op_sel:[0,0,1] op_sel_hi:[1,0,0]
	v_pk_fma_f32 v[120:121], v[124:125], s[14:15], v[120:121] op_sel:[0,0,1] op_sel_hi:[1,0,0] neg_lo:[0,0,1] neg_hi:[0,0,1]
	v_pk_add_f32 v[2:3], v[106:107], v[2:3]
	v_mov_b32_e32 v109, v115
	v_mov_b32_e32 v124, v126
	;; [unrolled: 1-line block ×3, first 2 shown]
	v_pk_add_f32 v[2:3], v[108:109], v[2:3]
	v_mov_b32_e32 v113, v119
	v_pk_add_f32 v[104:105], v[124:125], v[104:105]
	v_pk_mul_f32 v[124:125], v[130:131], s[42:43] op_sel_hi:[1,0]
	v_pk_add_f32 v[2:3], v[112:113], v[2:3]
	v_mov_b32_e32 v117, v123
	v_pk_fma_f32 v[130:131], v[128:129], s[10:11], v[124:125] op_sel:[0,0,1] op_sel_hi:[1,0,0]
	v_pk_fma_f32 v[124:125], v[128:129], s[10:11], v[124:125] op_sel:[0,0,1] op_sel_hi:[1,0,0] neg_lo:[0,0,1] neg_hi:[0,0,1]
	v_pk_add_f32 v[2:3], v[116:117], v[2:3]
	v_mov_b32_e32 v121, v127
	v_mov_b32_e32 v128, v130
	;; [unrolled: 1-line block ×3, first 2 shown]
	v_pk_add_f32 v[2:3], v[120:121], v[2:3]
	v_mov_b32_e32 v125, v131
	v_pk_add_f32 v[104:105], v[128:129], v[104:105]
	v_pk_add_f32 v[2:3], v[124:125], v[2:3]
	ds_write2_b64 v18, v[104:105], v[2:3] offset0:168 offset1:253
	v_pk_add_f32 v[2:3], v[0:1], v[236:237]
	v_mov_b32_e32 v143, v141
	v_pk_add_f32 v[2:3], v[242:243], v[2:3]
	v_mov_b32_e32 v179, v177
	;; [unrolled: 2-line block ×7, first 2 shown]
	v_pk_add_f32 v[2:3], v[4:5], v[2:3]
	v_pk_add_f32 v[4:5], v[0:1], v[196:197]
	v_mov_b32_e32 v191, v189
	v_pk_add_f32 v[4:5], v[208:209], v[4:5]
	v_mov_b32_e32 v159, v157
	;; [unrolled: 2-line block ×4, first 2 shown]
	v_pk_add_f32 v[4:5], v[220:221], v[4:5]
	v_accvgpr_read_b32 v14, a21
	v_pk_add_f32 v[4:5], v[224:225], v[4:5]
	v_mov_b32_e32 v69, v67
	v_pk_add_f32 v[4:5], v[228:229], v[4:5]
	v_mov_b32_e32 v37, v35
	v_pk_add_f32 v[4:5], v[232:233], v[4:5]
	ds_write2_b64 v15, v[2:3], v[4:5] offset0:82 offset1:167
	v_pk_add_f32 v[2:3], v[0:1], v[166:167]
	v_pk_add_f32 v[4:5], v[0:1], v[134:135]
	;; [unrolled: 1-line block ×16, first 2 shown]
	v_accvgpr_read_b32 v195, a41
	ds_write2_b64 v14, v[2:3], v[4:5] offset0:124 offset1:209
	v_pk_add_f32 v[2:3], v[0:1], v[68:69]
	v_mov_b32_e32 v73, v71
	v_pk_add_f32 v[4:5], v[0:1], v[36:37]
	v_mov_b32_e32 v41, v39
	v_pk_add_f32 v[0:1], v[0:1], v[194:195]
	v_accvgpr_read_b32 v173, a43
	v_pk_add_f32 v[2:3], v[72:73], v[2:3]
	v_mov_b32_e32 v77, v75
	v_pk_add_f32 v[4:5], v[40:41], v[4:5]
	v_mov_b32_e32 v45, v43
	v_pk_add_f32 v[0:1], v[172:173], v[0:1]
	v_accvgpr_read_b32 v145, a45
	;; [unrolled: 6-line block ×4, first 2 shown]
	v_pk_add_f32 v[2:3], v[84:85], v[2:3]
	v_mov_b32_e32 v89, v87
	v_pk_add_f32 v[4:5], v[52:53], v[4:5]
	v_mov_b32_e32 v57, v55
	;; [unrolled: 2-line block ×9, first 2 shown]
	v_pk_add_f32 v[2:3], v[100:101], v[2:3]
	v_pk_add_f32 v[4:5], v[64:65], v[4:5]
	v_accvgpr_read_b32 v13, a19
	v_pk_add_f32 v[0:1], v[32:33], v[0:1]
	v_accvgpr_read_b32 v10, a18
	ds_write2_b64 v13, v[2:3], v[4:5] offset0:166 offset1:251
	ds_write_b64 v136, v[0:1] offset:10880
	s_waitcnt lgkmcnt(0)
	s_barrier
	ds_read2_b64 v[0:3], v136 offset1:85
	v_mad_u64_u32 v[8:9], s[0:1], s6, v10, 0
	v_mov_b32_e32 v4, v9
	v_mad_u64_u32 v[4:5], s[0:1], s7, v10, v[4:5]
	v_accvgpr_read_b32 v10, a36
	v_accvgpr_read_b32 v11, a37
	v_mov_b32_e32 v9, v4
	s_waitcnt lgkmcnt(0)
	v_mul_f32_e32 v4, v11, v1
	v_fmac_f32_e32 v4, v10, v0
	v_mul_f32_e32 v0, v11, v0
	s_mov_b32 s0, 0xda71079e
	v_fma_f32 v0, v10, v1, -v0
	v_cvt_f64_f32_e32 v[4:5], v4
	s_mov_b32 s1, 0x3f46ad43
	v_cvt_f64_f32_e32 v[0:1], v0
	v_mul_f64 v[4:5], v[4:5], s[0:1]
	v_mul_f64 v[0:1], v[0:1], s[0:1]
	v_accvgpr_read_b32 v12, a20
	v_mov_b32_e32 v6, s2
	v_mov_b32_e32 v7, s3
	v_cvt_f32_f64_e32 v4, v[4:5]
	v_cvt_f32_f64_e32 v5, v[0:1]
	v_mad_u64_u32 v[0:1], s[2:3], s4, v12, 0
	v_mov_b32_e32 v10, v1
	v_mad_u64_u32 v[10:11], s[2:3], s5, v12, v[10:11]
	v_lshl_add_u64 v[6:7], v[8:9], 3, v[6:7]
	v_accvgpr_read_b32 v8, a34
	v_mov_b32_e32 v1, v10
	v_accvgpr_read_b32 v9, a35
	v_lshl_add_u64 v[6:7], v[0:1], 3, v[6:7]
	v_mul_f32_e32 v0, v9, v3
	v_fmac_f32_e32 v0, v8, v2
	v_cvt_f64_f32_e32 v[0:1], v0
	v_mul_f64 v[0:1], v[0:1], s[0:1]
	global_store_dwordx2 v[6:7], v[4:5], off
	v_cvt_f32_f64_e32 v4, v[0:1]
	v_mul_f32_e32 v0, v9, v2
	v_fma_f32 v0, v8, v3, -v0
	v_cvt_f64_f32_e32 v[0:1], v0
	v_mul_f64 v[0:1], v[0:1], s[0:1]
	v_cvt_f32_f64_e32 v5, v[0:1]
	ds_read2_b64 v[0:3], v136 offset0:170 offset1:255
	v_mov_b32_e32 v8, 0x2a8
	v_mad_u64_u32 v[6:7], s[2:3], s4, v8, v[6:7]
	s_mul_i32 s2, s5, 0x2a8
	v_accvgpr_read_b32 v10, a28
	v_add_u32_e32 v7, s2, v7
	v_accvgpr_read_b32 v11, a29
	global_store_dwordx2 v[6:7], v[4:5], off
	s_waitcnt lgkmcnt(0)
	v_mul_f32_e32 v4, v11, v1
	v_fmac_f32_e32 v4, v10, v0
	v_mul_f32_e32 v0, v11, v0
	v_fma_f32 v0, v10, v1, -v0
	v_cvt_f64_f32_e32 v[4:5], v4
	v_cvt_f64_f32_e32 v[0:1], v0
	v_accvgpr_read_b32 v10, a24
	v_mul_f64 v[4:5], v[4:5], s[0:1]
	v_mul_f64 v[0:1], v[0:1], s[0:1]
	v_accvgpr_read_b32 v11, a25
	v_cvt_f32_f64_e32 v4, v[4:5]
	v_cvt_f32_f64_e32 v5, v[0:1]
	v_mul_f32_e32 v0, v11, v3
	v_fmac_f32_e32 v0, v10, v2
	v_mad_u64_u32 v[6:7], s[6:7], s4, v8, v[6:7]
	v_cvt_f64_f32_e32 v[0:1], v0
	v_add_u32_e32 v7, s2, v7
	v_mul_f64 v[0:1], v[0:1], s[0:1]
	global_store_dwordx2 v[6:7], v[4:5], off
	v_cvt_f32_f64_e32 v4, v[0:1]
	v_mul_f32_e32 v0, v11, v2
	v_fma_f32 v0, v10, v3, -v0
	v_cvt_f64_f32_e32 v[0:1], v0
	v_mul_f64 v[0:1], v[0:1], s[0:1]
	v_cvt_f32_f64_e32 v5, v[0:1]
	ds_read2_b64 v[0:3], v22 offset0:84 offset1:169
	v_mad_u64_u32 v[6:7], s[6:7], s4, v8, v[6:7]
	v_accvgpr_read_b32 v10, a32
	v_add_u32_e32 v7, s2, v7
	v_accvgpr_read_b32 v11, a33
	global_store_dwordx2 v[6:7], v[4:5], off
	s_waitcnt lgkmcnt(0)
	v_mul_f32_e32 v4, v11, v1
	v_fmac_f32_e32 v4, v10, v0
	v_mul_f32_e32 v0, v11, v0
	v_fma_f32 v0, v10, v1, -v0
	v_cvt_f64_f32_e32 v[4:5], v4
	v_cvt_f64_f32_e32 v[0:1], v0
	v_accvgpr_read_b32 v10, a30
	v_mul_f64 v[4:5], v[4:5], s[0:1]
	v_mul_f64 v[0:1], v[0:1], s[0:1]
	v_accvgpr_read_b32 v11, a31
	v_cvt_f32_f64_e32 v4, v[4:5]
	v_cvt_f32_f64_e32 v5, v[0:1]
	v_mul_f32_e32 v0, v11, v3
	v_fmac_f32_e32 v0, v10, v2
	v_mad_u64_u32 v[6:7], s[6:7], s4, v8, v[6:7]
	v_cvt_f64_f32_e32 v[0:1], v0
	v_add_u32_e32 v7, s2, v7
	v_mul_f64 v[0:1], v[0:1], s[0:1]
	global_store_dwordx2 v[6:7], v[4:5], off
	v_cvt_f32_f64_e32 v4, v[0:1]
	v_mul_f32_e32 v0, v11, v2
	v_fma_f32 v0, v10, v3, -v0
	v_cvt_f64_f32_e32 v[0:1], v0
	v_mul_f64 v[0:1], v[0:1], s[0:1]
	v_cvt_f32_f64_e32 v5, v[0:1]
	ds_read2_b64 v[0:3], v137 offset0:126 offset1:211
	v_mad_u64_u32 v[6:7], s[6:7], s4, v8, v[6:7]
	;; [unrolled: 32-line block ×3, first 2 shown]
	v_add_u32_e32 v7, s2, v7
	v_accvgpr_read_b32 v11, a9
	global_store_dwordx2 v[6:7], v[4:5], off
	v_accvgpr_read_b32 v10, a8
	s_waitcnt lgkmcnt(0)
	v_mul_f32_e32 v4, v11, v1
	v_fmac_f32_e32 v4, v10, v0
	v_mul_f32_e32 v0, v11, v0
	v_fma_f32 v0, v10, v1, -v0
	v_cvt_f64_f32_e32 v[4:5], v4
	v_cvt_f64_f32_e32 v[0:1], v0
	v_mul_f64 v[4:5], v[4:5], s[0:1]
	v_mul_f64 v[0:1], v[0:1], s[0:1]
	v_accvgpr_read_b32 v11, a5
	v_cvt_f32_f64_e32 v4, v[4:5]
	v_cvt_f32_f64_e32 v5, v[0:1]
	v_accvgpr_read_b32 v10, a4
	v_mul_f32_e32 v0, v11, v3
	v_fmac_f32_e32 v0, v10, v2
	v_mad_u64_u32 v[6:7], s[6:7], s4, v8, v[6:7]
	v_cvt_f64_f32_e32 v[0:1], v0
	v_add_u32_e32 v7, s2, v7
	v_mul_f64 v[0:1], v[0:1], s[0:1]
	global_store_dwordx2 v[6:7], v[4:5], off
	v_cvt_f32_f64_e32 v4, v[0:1]
	v_mul_f32_e32 v0, v11, v2
	v_fma_f32 v0, v10, v3, -v0
	v_cvt_f64_f32_e32 v[0:1], v0
	v_mul_f64 v[0:1], v[0:1], s[0:1]
	v_cvt_f32_f64_e32 v5, v[0:1]
	ds_read2_b64 v[0:3], v15 offset0:82 offset1:167
	v_mad_u64_u32 v[6:7], s[6:7], s4, v8, v[6:7]
	v_add_u32_e32 v7, s2, v7
	v_accvgpr_read_b32 v11, a1
	global_store_dwordx2 v[6:7], v[4:5], off
	v_accvgpr_read_b32 v10, a0
	s_waitcnt lgkmcnt(0)
	v_mul_f32_e32 v4, v11, v1
	v_fmac_f32_e32 v4, v10, v0
	v_mul_f32_e32 v0, v11, v0
	v_fma_f32 v0, v10, v1, -v0
	v_cvt_f64_f32_e32 v[4:5], v4
	v_cvt_f64_f32_e32 v[0:1], v0
	v_accvgpr_read_b32 v10, a26
	v_mul_f64 v[4:5], v[4:5], s[0:1]
	v_mul_f64 v[0:1], v[0:1], s[0:1]
	v_accvgpr_read_b32 v11, a27
	v_cvt_f32_f64_e32 v4, v[4:5]
	v_cvt_f32_f64_e32 v5, v[0:1]
	v_mul_f32_e32 v0, v11, v3
	v_fmac_f32_e32 v0, v10, v2
	v_mad_u64_u32 v[6:7], s[6:7], s4, v8, v[6:7]
	v_cvt_f64_f32_e32 v[0:1], v0
	v_add_u32_e32 v7, s2, v7
	v_mul_f64 v[0:1], v[0:1], s[0:1]
	global_store_dwordx2 v[6:7], v[4:5], off
	v_cvt_f32_f64_e32 v4, v[0:1]
	v_mul_f32_e32 v0, v11, v2
	v_fma_f32 v0, v10, v3, -v0
	v_cvt_f64_f32_e32 v[0:1], v0
	v_mul_f64 v[0:1], v[0:1], s[0:1]
	v_cvt_f32_f64_e32 v5, v[0:1]
	ds_read2_b64 v[0:3], v14 offset0:124 offset1:209
	v_mad_u64_u32 v[6:7], s[6:7], s4, v8, v[6:7]
	v_accvgpr_read_b32 v10, a14
	v_add_u32_e32 v7, s2, v7
	v_accvgpr_read_b32 v11, a15
	global_store_dwordx2 v[6:7], v[4:5], off
	s_waitcnt lgkmcnt(0)
	v_mul_f32_e32 v4, v11, v1
	v_fmac_f32_e32 v4, v10, v0
	v_mul_f32_e32 v0, v11, v0
	v_fma_f32 v0, v10, v1, -v0
	v_cvt_f64_f32_e32 v[4:5], v4
	v_cvt_f64_f32_e32 v[0:1], v0
	v_accvgpr_read_b32 v10, a16
	v_mul_f64 v[4:5], v[4:5], s[0:1]
	v_mul_f64 v[0:1], v[0:1], s[0:1]
	v_accvgpr_read_b32 v11, a17
	v_cvt_f32_f64_e32 v4, v[4:5]
	v_cvt_f32_f64_e32 v5, v[0:1]
	v_mul_f32_e32 v0, v11, v3
	v_fmac_f32_e32 v0, v10, v2
	v_mad_u64_u32 v[6:7], s[6:7], s4, v8, v[6:7]
	v_cvt_f64_f32_e32 v[0:1], v0
	v_add_u32_e32 v7, s2, v7
	v_mul_f64 v[0:1], v[0:1], s[0:1]
	global_store_dwordx2 v[6:7], v[4:5], off
	v_cvt_f32_f64_e32 v4, v[0:1]
	v_mul_f32_e32 v0, v11, v2
	v_fma_f32 v0, v10, v3, -v0
	v_cvt_f64_f32_e32 v[0:1], v0
	v_mul_f64 v[0:1], v[0:1], s[0:1]
	v_cvt_f32_f64_e32 v5, v[0:1]
	ds_read2_b64 v[0:3], v13 offset0:166 offset1:251
	v_mad_u64_u32 v[6:7], s[6:7], s4, v8, v[6:7]
	v_accvgpr_read_b32 v10, a10
	v_add_u32_e32 v7, s2, v7
	v_accvgpr_read_b32 v11, a11
	global_store_dwordx2 v[6:7], v[4:5], off
	s_waitcnt lgkmcnt(0)
	v_mul_f32_e32 v4, v11, v1
	v_fmac_f32_e32 v4, v10, v0
	v_mul_f32_e32 v0, v11, v0
	v_fma_f32 v0, v10, v1, -v0
	v_cvt_f64_f32_e32 v[4:5], v4
	v_cvt_f64_f32_e32 v[0:1], v0
	v_mul_f64 v[4:5], v[4:5], s[0:1]
	v_mul_f64 v[0:1], v[0:1], s[0:1]
	v_cvt_f32_f64_e32 v4, v[4:5]
	v_cvt_f32_f64_e32 v5, v[0:1]
	v_mad_u64_u32 v[0:1], s[6:7], s4, v8, v[6:7]
	v_accvgpr_read_b32 v6, a6
	v_add_u32_e32 v1, s2, v1
	v_accvgpr_read_b32 v7, a7
	global_store_dwordx2 v[0:1], v[4:5], off
	v_mul_f32_e32 v4, v7, v3
	v_fmac_f32_e32 v4, v6, v2
	v_mul_f32_e32 v2, v7, v2
	v_fma_f32 v2, v6, v3, -v2
	v_cvt_f64_f32_e32 v[4:5], v4
	v_cvt_f64_f32_e32 v[2:3], v2
	v_mul_f64 v[4:5], v[4:5], s[0:1]
	v_mul_f64 v[2:3], v[2:3], s[0:1]
	v_cvt_f32_f64_e32 v4, v[4:5]
	v_cvt_f32_f64_e32 v5, v[2:3]
	ds_read_b64 v[2:3], v136 offset:10880
	v_mad_u64_u32 v[0:1], s[6:7], s4, v8, v[0:1]
	v_add_u32_e32 v1, s2, v1
	v_accvgpr_read_b32 v7, a3
	global_store_dwordx2 v[0:1], v[4:5], off
	v_accvgpr_read_b32 v6, a2
	s_waitcnt lgkmcnt(0)
	v_mul_f32_e32 v4, v7, v3
	v_fmac_f32_e32 v4, v6, v2
	v_mul_f32_e32 v2, v7, v2
	v_fma_f32 v2, v6, v3, -v2
	v_cvt_f64_f32_e32 v[4:5], v4
	v_cvt_f64_f32_e32 v[2:3], v2
	v_mul_f64 v[4:5], v[4:5], s[0:1]
	v_mul_f64 v[2:3], v[2:3], s[0:1]
	v_mad_u64_u32 v[0:1], s[0:1], s4, v8, v[0:1]
	v_cvt_f32_f64_e32 v4, v[4:5]
	v_cvt_f32_f64_e32 v5, v[2:3]
	v_add_u32_e32 v1, s2, v1
	global_store_dwordx2 v[0:1], v[4:5], off
.LBB0_10:
	s_endpgm
	.section	.rodata,"a",@progbits
	.p2align	6, 0x0
	.amdhsa_kernel bluestein_single_back_len1445_dim1_sp_op_CI_CI
		.amdhsa_group_segment_fixed_size 11560
		.amdhsa_private_segment_fixed_size 0
		.amdhsa_kernarg_size 104
		.amdhsa_user_sgpr_count 2
		.amdhsa_user_sgpr_dispatch_ptr 0
		.amdhsa_user_sgpr_queue_ptr 0
		.amdhsa_user_sgpr_kernarg_segment_ptr 1
		.amdhsa_user_sgpr_dispatch_id 0
		.amdhsa_user_sgpr_kernarg_preload_length 0
		.amdhsa_user_sgpr_kernarg_preload_offset 0
		.amdhsa_user_sgpr_private_segment_size 0
		.amdhsa_uses_dynamic_stack 0
		.amdhsa_enable_private_segment 0
		.amdhsa_system_sgpr_workgroup_id_x 1
		.amdhsa_system_sgpr_workgroup_id_y 0
		.amdhsa_system_sgpr_workgroup_id_z 0
		.amdhsa_system_sgpr_workgroup_info 0
		.amdhsa_system_vgpr_workitem_id 0
		.amdhsa_next_free_vgpr 424
		.amdhsa_next_free_sgpr 72
		.amdhsa_accum_offset 256
		.amdhsa_reserve_vcc 1
		.amdhsa_float_round_mode_32 0
		.amdhsa_float_round_mode_16_64 0
		.amdhsa_float_denorm_mode_32 3
		.amdhsa_float_denorm_mode_16_64 3
		.amdhsa_dx10_clamp 1
		.amdhsa_ieee_mode 1
		.amdhsa_fp16_overflow 0
		.amdhsa_tg_split 0
		.amdhsa_exception_fp_ieee_invalid_op 0
		.amdhsa_exception_fp_denorm_src 0
		.amdhsa_exception_fp_ieee_div_zero 0
		.amdhsa_exception_fp_ieee_overflow 0
		.amdhsa_exception_fp_ieee_underflow 0
		.amdhsa_exception_fp_ieee_inexact 0
		.amdhsa_exception_int_div_zero 0
	.end_amdhsa_kernel
	.text
.Lfunc_end0:
	.size	bluestein_single_back_len1445_dim1_sp_op_CI_CI, .Lfunc_end0-bluestein_single_back_len1445_dim1_sp_op_CI_CI
                                        ; -- End function
	.section	.AMDGPU.csdata,"",@progbits
; Kernel info:
; codeLenInByte = 28116
; NumSgprs: 78
; NumVgprs: 256
; NumAgprs: 168
; TotalNumVgprs: 424
; ScratchSize: 0
; MemoryBound: 0
; FloatMode: 240
; IeeeMode: 1
; LDSByteSize: 11560 bytes/workgroup (compile time only)
; SGPRBlocks: 9
; VGPRBlocks: 52
; NumSGPRsForWavesPerEU: 78
; NumVGPRsForWavesPerEU: 424
; AccumOffset: 256
; Occupancy: 1
; WaveLimiterHint : 1
; COMPUTE_PGM_RSRC2:SCRATCH_EN: 0
; COMPUTE_PGM_RSRC2:USER_SGPR: 2
; COMPUTE_PGM_RSRC2:TRAP_HANDLER: 0
; COMPUTE_PGM_RSRC2:TGID_X_EN: 1
; COMPUTE_PGM_RSRC2:TGID_Y_EN: 0
; COMPUTE_PGM_RSRC2:TGID_Z_EN: 0
; COMPUTE_PGM_RSRC2:TIDIG_COMP_CNT: 0
; COMPUTE_PGM_RSRC3_GFX90A:ACCUM_OFFSET: 63
; COMPUTE_PGM_RSRC3_GFX90A:TG_SPLIT: 0
	.text
	.p2alignl 6, 3212836864
	.fill 256, 4, 3212836864
	.type	__hip_cuid_5d45152756a6294e,@object ; @__hip_cuid_5d45152756a6294e
	.section	.bss,"aw",@nobits
	.globl	__hip_cuid_5d45152756a6294e
__hip_cuid_5d45152756a6294e:
	.byte	0                               ; 0x0
	.size	__hip_cuid_5d45152756a6294e, 1

	.ident	"AMD clang version 19.0.0git (https://github.com/RadeonOpenCompute/llvm-project roc-6.4.0 25133 c7fe45cf4b819c5991fe208aaa96edf142730f1d)"
	.section	".note.GNU-stack","",@progbits
	.addrsig
	.addrsig_sym __hip_cuid_5d45152756a6294e
	.amdgpu_metadata
---
amdhsa.kernels:
  - .agpr_count:     168
    .args:
      - .actual_access:  read_only
        .address_space:  global
        .offset:         0
        .size:           8
        .value_kind:     global_buffer
      - .actual_access:  read_only
        .address_space:  global
        .offset:         8
        .size:           8
        .value_kind:     global_buffer
      - .actual_access:  read_only
        .address_space:  global
        .offset:         16
        .size:           8
        .value_kind:     global_buffer
      - .actual_access:  read_only
        .address_space:  global
        .offset:         24
        .size:           8
        .value_kind:     global_buffer
      - .actual_access:  read_only
        .address_space:  global
        .offset:         32
        .size:           8
        .value_kind:     global_buffer
      - .offset:         40
        .size:           8
        .value_kind:     by_value
      - .address_space:  global
        .offset:         48
        .size:           8
        .value_kind:     global_buffer
      - .address_space:  global
        .offset:         56
        .size:           8
        .value_kind:     global_buffer
      - .address_space:  global
        .offset:         64
        .size:           8
        .value_kind:     global_buffer
      - .address_space:  global
        .offset:         72
        .size:           8
        .value_kind:     global_buffer
      - .offset:         80
        .size:           4
        .value_kind:     by_value
      - .address_space:  global
        .offset:         88
        .size:           8
        .value_kind:     global_buffer
      - .address_space:  global
        .offset:         96
        .size:           8
        .value_kind:     global_buffer
    .group_segment_fixed_size: 11560
    .kernarg_segment_align: 8
    .kernarg_segment_size: 104
    .language:       OpenCL C
    .language_version:
      - 2
      - 0
    .max_flat_workgroup_size: 85
    .name:           bluestein_single_back_len1445_dim1_sp_op_CI_CI
    .private_segment_fixed_size: 0
    .sgpr_count:     78
    .sgpr_spill_count: 0
    .symbol:         bluestein_single_back_len1445_dim1_sp_op_CI_CI.kd
    .uniform_work_group_size: 1
    .uses_dynamic_stack: false
    .vgpr_count:     424
    .vgpr_spill_count: 0
    .wavefront_size: 64
amdhsa.target:   amdgcn-amd-amdhsa--gfx950
amdhsa.version:
  - 1
  - 2
...

	.end_amdgpu_metadata
